;; amdgpu-corpus repo=ROCm/rocFFT kind=compiled arch=gfx950 opt=O3
	.text
	.amdgcn_target "amdgcn-amd-amdhsa--gfx950"
	.amdhsa_code_object_version 6
	.protected	fft_rtc_back_len1870_factors_17_10_11_wgs_187_tpt_187_halfLds_sp_ip_CI_unitstride_sbrr_R2C_dirReg ; -- Begin function fft_rtc_back_len1870_factors_17_10_11_wgs_187_tpt_187_halfLds_sp_ip_CI_unitstride_sbrr_R2C_dirReg
	.globl	fft_rtc_back_len1870_factors_17_10_11_wgs_187_tpt_187_halfLds_sp_ip_CI_unitstride_sbrr_R2C_dirReg
	.p2align	8
	.type	fft_rtc_back_len1870_factors_17_10_11_wgs_187_tpt_187_halfLds_sp_ip_CI_unitstride_sbrr_R2C_dirReg,@function
fft_rtc_back_len1870_factors_17_10_11_wgs_187_tpt_187_halfLds_sp_ip_CI_unitstride_sbrr_R2C_dirReg: ; @fft_rtc_back_len1870_factors_17_10_11_wgs_187_tpt_187_halfLds_sp_ip_CI_unitstride_sbrr_R2C_dirReg
; %bb.0:
	s_load_dwordx2 s[8:9], s[0:1], 0x50
	s_load_dwordx4 s[4:7], s[0:1], 0x0
	s_load_dwordx2 s[10:11], s[0:1], 0x18
	v_mul_u32_u24_e32 v1, 0x15f, v0
	v_add_u32_sdwa v6, s2, v1 dst_sel:DWORD dst_unused:UNUSED_PAD src0_sel:DWORD src1_sel:WORD_1
	v_mov_b32_e32 v4, 0
	s_waitcnt lgkmcnt(0)
	v_cmp_lt_u64_e64 s[2:3], s[6:7], 2
	v_mov_b32_e32 v7, v4
	s_and_b64 vcc, exec, s[2:3]
	v_mov_b64_e32 v[2:3], 0
	s_cbranch_vccnz .LBB0_8
; %bb.1:
	s_load_dwordx2 s[2:3], s[0:1], 0x10
	s_add_u32 s12, s10, 8
	s_addc_u32 s13, s11, 0
	s_mov_b64 s[14:15], 1
	v_mov_b64_e32 v[2:3], 0
	s_waitcnt lgkmcnt(0)
	s_add_u32 s16, s2, 8
	s_addc_u32 s17, s3, 0
.LBB0_2:                                ; =>This Inner Loop Header: Depth=1
	s_load_dwordx2 s[18:19], s[16:17], 0x0
                                        ; implicit-def: $vgpr8_vgpr9
	s_waitcnt lgkmcnt(0)
	v_or_b32_e32 v5, s19, v7
	v_cmp_ne_u64_e32 vcc, 0, v[4:5]
	s_and_saveexec_b64 s[2:3], vcc
	s_xor_b64 s[20:21], exec, s[2:3]
	s_cbranch_execz .LBB0_4
; %bb.3:                                ;   in Loop: Header=BB0_2 Depth=1
	v_cvt_f32_u32_e32 v1, s18
	v_cvt_f32_u32_e32 v5, s19
	s_sub_u32 s2, 0, s18
	s_subb_u32 s3, 0, s19
	v_fmac_f32_e32 v1, 0x4f800000, v5
	v_rcp_f32_e32 v1, v1
	s_nop 0
	v_mul_f32_e32 v1, 0x5f7ffffc, v1
	v_mul_f32_e32 v5, 0x2f800000, v1
	v_trunc_f32_e32 v5, v5
	v_fmac_f32_e32 v1, 0xcf800000, v5
	v_cvt_u32_f32_e32 v5, v5
	v_cvt_u32_f32_e32 v1, v1
	v_mul_lo_u32 v8, s2, v5
	v_mul_hi_u32 v10, s2, v1
	v_mul_lo_u32 v9, s3, v1
	v_add_u32_e32 v10, v10, v8
	v_mul_lo_u32 v12, s2, v1
	v_add_u32_e32 v13, v10, v9
	v_mul_hi_u32 v8, v1, v12
	v_mul_hi_u32 v11, v1, v13
	v_mul_lo_u32 v10, v1, v13
	v_mov_b32_e32 v9, v4
	v_lshl_add_u64 v[8:9], v[8:9], 0, v[10:11]
	v_mul_hi_u32 v11, v5, v12
	v_mul_lo_u32 v12, v5, v12
	v_add_co_u32_e32 v8, vcc, v8, v12
	v_mul_hi_u32 v10, v5, v13
	s_nop 0
	v_addc_co_u32_e32 v8, vcc, v9, v11, vcc
	v_mov_b32_e32 v9, v4
	s_nop 0
	v_addc_co_u32_e32 v11, vcc, 0, v10, vcc
	v_mul_lo_u32 v10, v5, v13
	v_lshl_add_u64 v[8:9], v[8:9], 0, v[10:11]
	v_add_co_u32_e32 v1, vcc, v1, v8
	v_mul_lo_u32 v10, s2, v1
	s_nop 0
	v_addc_co_u32_e32 v5, vcc, v5, v9, vcc
	v_mul_lo_u32 v8, s2, v5
	v_mul_hi_u32 v9, s2, v1
	v_add_u32_e32 v8, v9, v8
	v_mul_lo_u32 v9, s3, v1
	v_add_u32_e32 v12, v8, v9
	v_mul_hi_u32 v14, v5, v10
	v_mul_lo_u32 v15, v5, v10
	v_mul_hi_u32 v9, v1, v12
	v_mul_lo_u32 v8, v1, v12
	v_mul_hi_u32 v10, v1, v10
	v_mov_b32_e32 v11, v4
	v_lshl_add_u64 v[8:9], v[10:11], 0, v[8:9]
	v_add_co_u32_e32 v8, vcc, v8, v15
	v_mul_hi_u32 v13, v5, v12
	s_nop 0
	v_addc_co_u32_e32 v8, vcc, v9, v14, vcc
	v_mul_lo_u32 v10, v5, v12
	s_nop 0
	v_addc_co_u32_e32 v11, vcc, 0, v13, vcc
	v_mov_b32_e32 v9, v4
	v_lshl_add_u64 v[8:9], v[8:9], 0, v[10:11]
	v_add_co_u32_e32 v1, vcc, v1, v8
	v_mul_hi_u32 v10, v6, v1
	s_nop 0
	v_addc_co_u32_e32 v5, vcc, v5, v9, vcc
	v_mad_u64_u32 v[8:9], s[2:3], v6, v5, 0
	v_mov_b32_e32 v11, v4
	v_lshl_add_u64 v[8:9], v[10:11], 0, v[8:9]
	v_mad_u64_u32 v[12:13], s[2:3], v7, v1, 0
	v_add_co_u32_e32 v1, vcc, v8, v12
	v_mad_u64_u32 v[10:11], s[2:3], v7, v5, 0
	s_nop 0
	v_addc_co_u32_e32 v8, vcc, v9, v13, vcc
	v_mov_b32_e32 v9, v4
	s_nop 0
	v_addc_co_u32_e32 v11, vcc, 0, v11, vcc
	v_lshl_add_u64 v[8:9], v[8:9], 0, v[10:11]
	v_mul_lo_u32 v1, s19, v8
	v_mul_lo_u32 v5, s18, v9
	v_mad_u64_u32 v[10:11], s[2:3], s18, v8, 0
	v_add3_u32 v1, v11, v5, v1
	v_sub_u32_e32 v5, v7, v1
	v_mov_b32_e32 v11, s19
	v_sub_co_u32_e32 v14, vcc, v6, v10
	v_lshl_add_u64 v[12:13], v[8:9], 0, 1
	s_nop 0
	v_subb_co_u32_e64 v5, s[2:3], v5, v11, vcc
	v_subrev_co_u32_e64 v10, s[2:3], s18, v14
	v_subb_co_u32_e32 v1, vcc, v7, v1, vcc
	s_nop 0
	v_subbrev_co_u32_e64 v5, s[2:3], 0, v5, s[2:3]
	v_cmp_le_u32_e64 s[2:3], s19, v5
	v_cmp_le_u32_e32 vcc, s19, v1
	s_nop 0
	v_cndmask_b32_e64 v11, 0, -1, s[2:3]
	v_cmp_le_u32_e64 s[2:3], s18, v10
	s_nop 1
	v_cndmask_b32_e64 v10, 0, -1, s[2:3]
	v_cmp_eq_u32_e64 s[2:3], s19, v5
	s_nop 1
	v_cndmask_b32_e64 v5, v11, v10, s[2:3]
	v_lshl_add_u64 v[10:11], v[8:9], 0, 2
	v_cmp_ne_u32_e64 s[2:3], 0, v5
	s_nop 1
	v_cndmask_b32_e64 v5, v13, v11, s[2:3]
	v_cndmask_b32_e64 v11, 0, -1, vcc
	v_cmp_le_u32_e32 vcc, s18, v14
	s_nop 1
	v_cndmask_b32_e64 v13, 0, -1, vcc
	v_cmp_eq_u32_e32 vcc, s19, v1
	s_nop 1
	v_cndmask_b32_e32 v1, v11, v13, vcc
	v_cmp_ne_u32_e32 vcc, 0, v1
	v_cndmask_b32_e64 v1, v12, v10, s[2:3]
	s_nop 0
	v_cndmask_b32_e32 v9, v9, v5, vcc
	v_cndmask_b32_e32 v8, v8, v1, vcc
.LBB0_4:                                ;   in Loop: Header=BB0_2 Depth=1
	s_andn2_saveexec_b64 s[2:3], s[20:21]
	s_cbranch_execz .LBB0_6
; %bb.5:                                ;   in Loop: Header=BB0_2 Depth=1
	v_cvt_f32_u32_e32 v1, s18
	s_sub_i32 s20, 0, s18
	v_rcp_iflag_f32_e32 v1, v1
	s_nop 0
	v_mul_f32_e32 v1, 0x4f7ffffe, v1
	v_cvt_u32_f32_e32 v1, v1
	v_mul_lo_u32 v5, s20, v1
	v_mul_hi_u32 v5, v1, v5
	v_add_u32_e32 v1, v1, v5
	v_mul_hi_u32 v1, v6, v1
	v_mul_lo_u32 v5, v1, s18
	v_sub_u32_e32 v5, v6, v5
	v_add_u32_e32 v8, 1, v1
	v_subrev_u32_e32 v9, s18, v5
	v_cmp_le_u32_e32 vcc, s18, v5
	s_nop 1
	v_cndmask_b32_e32 v5, v5, v9, vcc
	v_cndmask_b32_e32 v1, v1, v8, vcc
	v_add_u32_e32 v8, 1, v1
	v_cmp_le_u32_e32 vcc, s18, v5
	v_mov_b32_e32 v9, v4
	s_nop 0
	v_cndmask_b32_e32 v8, v1, v8, vcc
.LBB0_6:                                ;   in Loop: Header=BB0_2 Depth=1
	s_or_b64 exec, exec, s[2:3]
	v_mad_u64_u32 v[10:11], s[2:3], v8, s18, 0
	s_load_dwordx2 s[2:3], s[12:13], 0x0
	v_mul_lo_u32 v1, v9, s18
	v_mul_lo_u32 v5, v8, s19
	v_add3_u32 v1, v11, v5, v1
	v_sub_co_u32_e32 v5, vcc, v6, v10
	s_add_u32 s14, s14, 1
	s_nop 0
	v_subb_co_u32_e32 v1, vcc, v7, v1, vcc
	s_addc_u32 s15, s15, 0
	s_waitcnt lgkmcnt(0)
	v_mul_lo_u32 v1, s2, v1
	v_mul_lo_u32 v6, s3, v5
	v_mad_u64_u32 v[2:3], s[2:3], s2, v5, v[2:3]
	s_add_u32 s12, s12, 8
	v_add3_u32 v3, v6, v3, v1
	s_addc_u32 s13, s13, 0
	v_mov_b64_e32 v[6:7], s[6:7]
	s_add_u32 s16, s16, 8
	v_cmp_ge_u64_e32 vcc, s[14:15], v[6:7]
	s_addc_u32 s17, s17, 0
	s_cbranch_vccnz .LBB0_9
; %bb.7:                                ;   in Loop: Header=BB0_2 Depth=1
	v_mov_b64_e32 v[6:7], v[8:9]
	s_branch .LBB0_2
.LBB0_8:
	v_mov_b64_e32 v[8:9], v[6:7]
.LBB0_9:
	s_lshl_b64 s[2:3], s[6:7], 3
	s_add_u32 s2, s10, s2
	s_addc_u32 s3, s11, s3
	s_load_dwordx2 s[6:7], s[2:3], 0x0
	s_load_dwordx2 s[10:11], s[0:1], 0x20
	s_mov_b32 s2, 0x15e75bc
	s_waitcnt lgkmcnt(0)
	v_mul_lo_u32 v1, s6, v9
	v_mul_lo_u32 v4, s7, v8
	v_mad_u64_u32 v[2:3], s[0:1], s6, v8, v[2:3]
	v_add3_u32 v3, v4, v3, v1
	v_mul_hi_u32 v1, v0, s2
	v_mul_u32_u24_e32 v1, 0xbb, v1
	v_sub_u32_e32 v34, v0, v1
	v_cmp_gt_u64_e64 s[0:1], s[10:11], v[8:9]
	v_lshl_add_u64 v[110:111], v[2:3], 3, s[8:9]
	v_lshl_add_u32 v240, v34, 3, 0
	s_and_saveexec_b64 s[2:3], s[0:1]
	s_cbranch_execz .LBB0_11
; %bb.10:
	v_mov_b32_e32 v35, 0
	v_lshl_add_u64 v[0:1], v[34:35], 3, v[110:111]
	v_add_co_u32_e32 v2, vcc, 0x1000, v0
	s_nop 1
	v_addc_co_u32_e32 v3, vcc, 0, v1, vcc
	v_add_co_u32_e32 v12, vcc, 0x2000, v0
	global_load_dwordx2 v[4:5], v[0:1], off
	global_load_dwordx2 v[6:7], v[0:1], off offset:1496
	global_load_dwordx2 v[8:9], v[0:1], off offset:2992
	global_load_dwordx2 v[10:11], v[2:3], off offset:392
	v_addc_co_u32_e32 v13, vcc, 0, v1, vcc
	global_load_dwordx2 v[14:15], v[2:3], off offset:1888
	global_load_dwordx2 v[16:17], v[2:3], off offset:3384
	;; [unrolled: 1-line block ×4, first 2 shown]
	v_add_co_u32_e32 v0, vcc, 0x3000, v0
	s_nop 1
	v_addc_co_u32_e32 v1, vcc, 0, v1, vcc
	global_load_dwordx2 v[2:3], v[12:13], off offset:3776
	global_load_dwordx2 v[22:23], v[0:1], off offset:1176
	v_add_u32_e32 v0, 0xa00, v240
	v_add_u32_e32 v1, 0x1600, v240
	;; [unrolled: 1-line block ×3, first 2 shown]
	s_waitcnt vmcnt(8)
	ds_write2_b64 v240, v[4:5], v[6:7] offset1:187
	s_waitcnt vmcnt(6)
	ds_write2_b64 v0, v[8:9], v[10:11] offset0:54 offset1:241
	s_waitcnt vmcnt(4)
	ds_write2_b64 v1, v[14:15], v[16:17] offset0:44 offset1:231
	;; [unrolled: 2-line block ×3, first 2 shown]
	v_add_u32_e32 v0, 0x2e00, v240
	s_waitcnt vmcnt(0)
	ds_write2_b64 v0, v[2:3], v[22:23] offset0:24 offset1:211
.LBB0_11:
	s_or_b64 exec, exec, s[2:3]
	v_add_u32_e32 v4, 0x2800, v240
	v_add_u32_e32 v8, 0x3000, v240
	s_waitcnt lgkmcnt(0)
	s_barrier
	ds_read2_b64 v[0:3], v240 offset1:110
	ds_read2_b64 v[4:7], v4 offset0:40 offset1:150
	ds_read2_b64 v[8:11], v8 offset0:4 offset1:114
	ds_read_b64 v[50:51], v240 offset:14080
	v_add_u32_e32 v12, 0x400, v240
	ds_read2_b64 v[16:19], v12 offset0:92 offset1:202
	s_mov_b32 s8, 0xbf59a7d5
	s_mov_b32 s9, 0xbf06c442
	s_waitcnt lgkmcnt(1)
	v_pk_add_f32 v[46:47], v[50:51], v[2:3]
	v_pk_add_f32 v[48:49], v[2:3], v[50:51] neg_lo:[0,1] neg_hi:[0,1]
	s_mov_b32 s6, 0x3ee437d1
	s_waitcnt lgkmcnt(0)
	v_pk_add_f32 v[42:43], v[10:11], v[16:17]
	v_pk_add_f32 v[44:45], v[16:17], v[10:11] neg_lo:[0,1] neg_hi:[0,1]
	v_mov_b32_e32 v20, v49
	v_mov_b32_e32 v21, v47
	s_mov_b32 s2, s9
	s_mov_b32 s3, s8
	;; [unrolled: 1-line block ×3, first 2 shown]
	v_pk_mul_f32 v[146:147], v[20:21], s[2:3]
	v_mov_b32_e32 v64, v46
	v_mov_b32_e32 v65, v48
	v_mov_b32_e32 v22, v45
	v_mov_b32_e32 v23, v43
	s_mov_b32 s2, s7
	s_mov_b32 s3, s6
	v_add_u32_e32 v12, 0xc00, v240
	v_pk_fma_f32 v[60:61], v[64:65], s[8:9], v[146:147]
	v_pk_fma_f32 v[20:21], v[64:65], s[8:9], v[146:147] neg_lo:[0,0,1] neg_hi:[0,0,1]
	v_pk_mul_f32 v[62:63], v[22:23], s[2:3]
	v_mov_b32_e32 v74, v42
	v_mov_b32_e32 v75, v44
	ds_read2_b64 v[12:15], v12 offset0:56 offset1:166
	v_mov_b32_e32 v21, v61
	v_pk_fma_f32 v[72:73], v[74:75], s[6:7], v[62:63]
	v_pk_fma_f32 v[22:23], v[74:75], s[6:7], v[62:63] neg_lo:[0,0,1] neg_hi:[0,0,1]
	s_mov_b32 s10, 0x3dbcf732
	v_pk_add_f32 v[38:39], v[8:9], v[18:19]
	v_pk_add_f32 v[222:223], v[18:19], v[8:9] neg_lo:[0,1] neg_hi:[0,1]
	v_pk_add_f32 v[20:21], v[0:1], v[20:21]
	v_mov_b32_e32 v23, v73
	s_mov_b32 s11, 0xbf7ee86f
	v_pk_add_f32 v[20:21], v[22:23], v[20:21]
	v_mov_b32_e32 v22, v223
	v_mov_b32_e32 v23, v39
	s_mov_b32 s2, s11
	s_mov_b32 s3, s10
	v_pk_mul_f32 v[70:71], v[22:23], s[2:3]
	v_mov_b32_e32 v84, v38
	v_mov_b32_e32 v85, v222
	v_pk_fma_f32 v[82:83], v[84:85], s[10:11], v[70:71]
	v_pk_fma_f32 v[22:23], v[84:85], s[10:11], v[70:71] neg_lo:[0,0,1] neg_hi:[0,0,1]
	s_mov_b32 s12, 0xbf1a4643
	v_mov_b32_e32 v23, v83
	s_waitcnt lgkmcnt(0)
	v_pk_add_f32 v[52:53], v[6:7], v[12:13]
	v_pk_add_f32 v[54:55], v[12:13], v[6:7] neg_lo:[0,1] neg_hi:[0,1]
	s_mov_b32 s13, 0x3f4c4adb
	v_pk_add_f32 v[20:21], v[22:23], v[20:21]
	v_mov_b32_e32 v22, v55
	v_mov_b32_e32 v23, v53
	s_mov_b32 s2, s13
	s_mov_b32 s3, s12
	v_pk_mul_f32 v[190:191], v[22:23], s[2:3]
	v_mov_b32_e32 v106, v52
	v_mov_b32_e32 v107, v54
	v_pk_fma_f32 v[104:105], v[106:107], s[12:13], v[190:191]
	v_pk_fma_f32 v[22:23], v[106:107], s[12:13], v[190:191] neg_lo:[0,0,1] neg_hi:[0,0,1]
	s_mov_b32 s14, 0x3f6eb680
	v_mov_b32_e32 v23, v105
	v_pk_add_f32 v[56:57], v[4:5], v[14:15]
	v_pk_add_f32 v[58:59], v[14:15], v[4:5] neg_lo:[0,1] neg_hi:[0,1]
	s_mov_b32 s15, 0xbeb8f4ab
	v_pk_add_f32 v[28:29], v[22:23], v[20:21]
	v_mov_b32_e32 v20, v59
	v_mov_b32_e32 v21, v57
	s_mov_b32 s2, s15
	s_mov_b32 s3, s14
	v_pk_mul_f32 v[88:89], v[20:21], s[2:3]
	v_add_u32_e32 v20, 0x1400, v240
	v_add_u32_e32 v21, 0x2000, v240
	ds_read2_b64 v[24:27], v20 offset0:20 offset1:130
	ds_read2_b64 v[20:23], v21 offset0:76 offset1:186
	v_mov_b32_e32 v126, v56
	v_mov_b32_e32 v127, v58
	v_pk_fma_f32 v[132:133], v[126:127], s[14:15], v[88:89]
	v_pk_fma_f32 v[30:31], v[126:127], s[14:15], v[88:89] neg_lo:[0,0,1] neg_hi:[0,0,1]
	s_mov_b32 s18, 0xbf7ba420
	v_mov_b32_e32 v31, v133
	s_waitcnt lgkmcnt(0)
	v_pk_add_f32 v[66:67], v[22:23], v[24:25]
	v_pk_add_f32 v[68:69], v[24:25], v[22:23] neg_lo:[0,1] neg_hi:[0,1]
	s_mov_b32 s19, 0xbe3c28d5
	v_pk_add_f32 v[28:29], v[30:31], v[28:29]
	v_mov_b32_e32 v30, v69
	v_mov_b32_e32 v31, v67
	s_mov_b32 s2, s19
	s_mov_b32 s3, s18
	v_pk_mul_f32 v[90:91], v[30:31], s[2:3]
	v_mov_b32_e32 v138, v66
	v_mov_b32_e32 v139, v68
	v_pk_fma_f32 v[136:137], v[138:139], s[18:19], v[90:91]
	v_pk_fma_f32 v[30:31], v[138:139], s[18:19], v[90:91] neg_lo:[0,0,1] neg_hi:[0,0,1]
	s_mov_b32 s16, 0x3f3d2fb0
	v_mov_b32_e32 v31, v137
	v_pk_add_f32 v[76:77], v[20:21], v[26:27]
	v_pk_add_f32 v[80:81], v[26:27], v[20:21] neg_lo:[0,1] neg_hi:[0,1]
	s_mov_b32 s17, 0x3f2c7751
	v_pk_add_f32 v[36:37], v[30:31], v[28:29]
	v_mov_b32_e32 v28, v81
	v_mov_b32_e32 v29, v77
	s_mov_b32 s2, s17
	s_mov_b32 s3, s16
	v_pk_mul_f32 v[92:93], v[28:29], s[2:3]
	v_add_u32_e32 v28, 0x1800, v240
	ds_read2_b64 v[28:31], v28 offset0:112 offset1:222
	v_mov_b32_e32 v142, v76
	v_mov_b32_e32 v143, v80
	v_pk_fma_f32 v[144:145], v[142:143], s[16:17], v[92:93]
	v_pk_fma_f32 v[86:87], v[142:143], s[16:17], v[92:93] neg_lo:[0,0,1] neg_hi:[0,0,1]
	s_mov_b32 s20, 0xbe8c1d8e
	v_mov_b32_e32 v87, v145
	s_waitcnt lgkmcnt(0)
	v_pk_add_f32 v[108:109], v[30:31], v[28:29]
	v_pk_add_f32 v[114:115], v[28:29], v[30:31] neg_lo:[0,1] neg_hi:[0,1]
	s_mov_b32 s21, 0xbf763a35
	v_pk_add_f32 v[36:37], v[86:87], v[36:37]
	v_mov_b32_e32 v86, v115
	v_mov_b32_e32 v87, v109
	s_mov_b32 s2, s21
	s_mov_b32 s3, s20
	v_pk_mul_f32 v[94:95], v[86:87], s[2:3]
	v_mov_b32_e32 v150, v108
	v_mov_b32_e32 v151, v114
	v_pk_fma_f32 v[148:149], v[150:151], s[20:21], v[94:95]
	v_pk_fma_f32 v[86:87], v[150:151], s[20:21], v[94:95] neg_lo:[0,0,1] neg_hi:[0,0,1]
	s_movk_i32 s2, 0x6e
	v_mov_b32_e32 v87, v149
	v_pk_add_f32 v[78:79], v[86:87], v[36:37]
	v_cmp_gt_u32_e32 vcc, s2, v34
	s_barrier
	s_and_saveexec_b64 s[2:3], vcc
	s_cbranch_execz .LBB0_13
; %bb.12:
	v_pk_add_f32 v[2:3], v[0:1], v[2:3]
	s_mov_b32 s34, s15
	v_pk_add_f32 v[2:3], v[2:3], v[16:17]
	v_pk_mul_f32 v[86:87], v[48:49], s[34:35] op_sel_hi:[1,0]
	v_pk_add_f32 v[2:3], v[2:3], v[18:19]
	s_mov_b32 s30, 0xbf2c7751
	v_pk_add_f32 v[2:3], v[2:3], v[12:13]
	v_pk_mul_f32 v[16:17], v[44:45], s[30:31] op_sel_hi:[1,0]
	v_pk_add_f32 v[2:3], v[2:3], v[14:15]
	s_mov_b32 s40, 0xbf65296c
	v_pk_add_f32 v[2:3], v[2:3], v[24:25]
	v_pk_fma_f32 v[12:13], v[42:43], s[16:17], v[16:17] op_sel:[0,0,1] op_sel_hi:[1,0,0]
	v_pk_add_f32 v[2:3], v[2:3], v[26:27]
	v_pk_mul_f32 v[18:19], v[222:223], s[40:41] op_sel_hi:[1,0]
	v_pk_add_f32 v[2:3], v[2:3], v[28:29]
	v_mov_b32_e32 v35, v13
	v_pk_add_f32 v[2:3], v[2:3], v[30:31]
	s_mov_b32 s46, s11
	v_pk_add_f32 v[2:3], v[2:3], v[20:21]
	v_accvgpr_write_b32 a18, v88
	v_pk_add_f32 v[2:3], v[2:3], v[22:23]
	v_accvgpr_write_b32 a19, v89
	v_pk_add_f32 v[2:3], v[2:3], v[4:5]
	v_pk_fma_f32 v[4:5], v[46:47], s[14:15], v[86:87] op_sel:[0,0,1] op_sel_hi:[1,0,0] neg_lo:[0,0,1] neg_hi:[0,0,1]
	v_pk_add_f32 v[2:3], v[2:3], v[6:7]
	v_pk_fma_f32 v[6:7], v[46:47], s[14:15], v[86:87] op_sel:[0,0,1] op_sel_hi:[1,0,0]
	v_pk_add_f32 v[2:3], v[2:3], v[8:9]
	v_accvgpr_write_b32 a13, v7
	v_mov_b32_e32 v7, v5
	v_pk_fma_f32 v[8:9], v[42:43], s[16:17], v[16:17] op_sel:[0,0,1] op_sel_hi:[1,0,0] neg_lo:[0,0,1] neg_hi:[0,0,1]
	v_pk_add_f32 v[2:3], v[2:3], v[10:11]
	v_pk_add_f32 v[10:11], v[0:1], v[6:7]
	v_mov_b32_e32 v13, v9
	v_pk_add_f32 v[14:15], v[12:13], v[10:11]
	v_pk_fma_f32 v[16:17], v[38:39], s[6:7], v[18:19] op_sel:[0,0,1] op_sel_hi:[1,0,0]
	v_pk_fma_f32 v[12:13], v[38:39], s[6:7], v[18:19] op_sel:[0,0,1] op_sel_hi:[1,0,0] neg_lo:[0,0,1] neg_hi:[0,0,1]
	v_pk_mul_f32 v[88:89], v[54:55], s[46:47] op_sel_hi:[1,0]
	v_mov_b32_e32 v241, v17
	v_mov_b32_e32 v17, v13
	s_mov_b32 s22, s21
	v_accvgpr_write_b32 a14, v90
	v_pk_add_f32 v[18:19], v[16:17], v[14:15]
	v_pk_fma_f32 v[20:21], v[52:53], s[10:11], v[88:89] op_sel:[0,0,1] op_sel_hi:[1,0,0]
	v_pk_fma_f32 v[16:17], v[52:53], s[10:11], v[88:89] op_sel:[0,0,1] op_sel_hi:[1,0,0] neg_lo:[0,0,1] neg_hi:[0,0,1]
	v_accvgpr_write_b32 a15, v91
	v_pk_mul_f32 v[90:91], v[58:59], s[22:23] op_sel_hi:[1,0]
	s_mov_b32 s24, 0xbf4c4adb
	v_accvgpr_write_b32 a5, v21
	v_mov_b32_e32 v21, v17
	v_pk_mul_f32 v[24:25], v[68:69], s[24:25] op_sel_hi:[1,0]
	v_pk_add_f32 v[22:23], v[20:21], v[18:19]
	v_pk_fma_f32 v[26:27], v[56:57], s[20:21], v[90:91] op_sel:[0,0,1] op_sel_hi:[1,0,0]
	v_pk_fma_f32 v[20:21], v[56:57], s[20:21], v[90:91] op_sel:[0,0,1] op_sel_hi:[1,0,0] neg_lo:[0,0,1] neg_hi:[0,0,1]
	s_mov_b32 s26, s9
	v_accvgpr_write_b32 a16, v92
	v_accvgpr_write_b32 a7, v27
	v_mov_b32_e32 v27, v21
	v_pk_fma_f32 v[28:29], v[66:67], s[12:13], v[24:25] op_sel:[0,0,1] op_sel_hi:[1,0,0]
	v_pk_fma_f32 v[24:25], v[66:67], s[12:13], v[24:25] op_sel:[0,0,1] op_sel_hi:[1,0,0] neg_lo:[0,0,1] neg_hi:[0,0,1]
	v_accvgpr_write_b32 a17, v93
	v_pk_mul_f32 v[92:93], v[80:81], s[26:27] op_sel_hi:[1,0]
	v_accvgpr_write_b32 a20, v94
	v_pk_add_f32 v[26:27], v[26:27], v[22:23]
	v_accvgpr_write_b32 a9, v29
	v_mov_b32_e32 v29, v25
	v_accvgpr_write_b32 a21, v95
	v_pk_add_f32 v[94:95], v[2:3], v[50:51]
	v_pk_add_f32 v[30:31], v[28:29], v[26:27]
	v_pk_fma_f32 v[50:51], v[76:77], s[8:9], v[92:93] op_sel:[0,0,1] op_sel_hi:[1,0,0]
	v_pk_fma_f32 v[28:29], v[76:77], s[8:9], v[92:93] op_sel:[0,0,1] op_sel_hi:[1,0,0] neg_lo:[0,0,1] neg_hi:[0,0,1]
	s_mov_b32 s28, s19
	v_accvgpr_write_b32 a11, v51
	v_mov_b32_e32 v51, v29
	v_pk_add_f32 v[86:87], v[50:51], v[30:31]
	v_pk_mul_f32 v[50:51], v[114:115], s[28:29] op_sel_hi:[1,0]
	v_pk_mul_f32 v[92:93], v[44:45], s[46:47] op_sel_hi:[1,0]
	v_pk_fma_f32 v[30:31], v[108:109], s[18:19], v[50:51] op_sel:[0,0,1] op_sel_hi:[1,0,0]
	v_pk_fma_f32 v[50:51], v[108:109], s[18:19], v[50:51] op_sel:[0,0,1] op_sel_hi:[1,0,0] neg_lo:[0,0,1] neg_hi:[0,0,1]
	v_mov_b32_e32 v88, v30
	v_mov_b32_e32 v89, v51
	v_pk_add_f32 v[86:87], v[88:89], v[86:87]
	v_pk_mul_f32 v[88:89], v[48:49], s[30:31] op_sel_hi:[1,0]
	v_lshl_add_u32 v30, v34, 7, v240
	v_pk_fma_f32 v[90:91], v[46:47], s[16:17], v[88:89] op_sel:[0,0,1] op_sel_hi:[1,0,0]
	v_pk_fma_f32 v[88:89], v[46:47], s[16:17], v[88:89] op_sel:[0,0,1] op_sel_hi:[1,0,0] neg_lo:[0,0,1] neg_hi:[0,0,1]
	v_mov_b32_e32 v5, v91
	v_mov_b32_e32 v91, v89
	v_pk_fma_f32 v[96:97], v[42:43], s[10:11], v[92:93] op_sel:[0,0,1] op_sel_hi:[1,0,0]
	v_pk_fma_f32 v[92:93], v[42:43], s[10:11], v[92:93] op_sel:[0,0,1] op_sel_hi:[1,0,0] neg_lo:[0,0,1] neg_hi:[0,0,1]
	ds_write2_b64 v30, v[94:95], v[86:87] offset1:1
	v_pk_add_f32 v[94:95], v[0:1], v[90:91]
	v_mov_b32_e32 v9, v97
	v_mov_b32_e32 v97, v93
	v_pk_add_f32 v[100:101], v[96:97], v[94:95]
	v_pk_mul_f32 v[96:97], v[222:223], s[24:25] op_sel_hi:[1,0]
	v_accvgpr_write_b32 a0, v110
	v_pk_fma_f32 v[94:95], v[38:39], s[12:13], v[96:97] op_sel:[0,0,1] op_sel_hi:[1,0,0]
	v_pk_fma_f32 v[96:97], v[38:39], s[12:13], v[96:97] op_sel:[0,0,1] op_sel_hi:[1,0,0] neg_lo:[0,0,1] neg_hi:[0,0,1]
	v_mov_b32_e32 v102, v94
	v_mov_b32_e32 v103, v97
	v_accvgpr_write_b32 a1, v111
	v_pk_add_f32 v[110:111], v[102:103], v[100:101]
	v_pk_mul_f32 v[102:103], v[54:55], s[28:29] op_sel_hi:[1,0]
	s_mov_b32 s48, 0x3f06c442
	v_pk_fma_f32 v[100:101], v[52:53], s[18:19], v[102:103] op_sel:[0,0,1] op_sel_hi:[1,0,0]
	v_pk_fma_f32 v[102:103], v[52:53], s[18:19], v[102:103] op_sel:[0,0,1] op_sel_hi:[1,0,0] neg_lo:[0,0,1] neg_hi:[0,0,1]
	v_mov_b32_e32 v112, v100
	v_mov_b32_e32 v113, v103
	v_pk_add_f32 v[116:117], v[112:113], v[110:111]
	v_pk_mul_f32 v[112:113], v[58:59], s[48:49] op_sel_hi:[1,0]
	s_mov_b32 s44, 0x3f763a35
	v_pk_fma_f32 v[110:111], v[56:57], s[8:9], v[112:113] op_sel:[0,0,1] op_sel_hi:[1,0,0]
	v_pk_fma_f32 v[112:113], v[56:57], s[8:9], v[112:113] op_sel:[0,0,1] op_sel_hi:[1,0,0] neg_lo:[0,0,1] neg_hi:[0,0,1]
	v_mov_b32_e32 v118, v110
	v_mov_b32_e32 v119, v113
	;; [unrolled: 7-line block ×4, first 2 shown]
	v_pk_add_f32 v[152:153], v[130:131], v[128:129]
	v_pk_mul_f32 v[130:131], v[114:115], s[38:39] op_sel_hi:[1,0]
	v_pk_mul_f32 v[158:159], v[44:45], s[24:25] op_sel_hi:[1,0]
	v_pk_fma_f32 v[128:129], v[108:109], s[14:15], v[130:131] op_sel:[0,0,1] op_sel_hi:[1,0,0]
	v_pk_fma_f32 v[130:131], v[108:109], s[14:15], v[130:131] op_sel:[0,0,1] op_sel_hi:[1,0,0] neg_lo:[0,0,1] neg_hi:[0,0,1]
	v_mov_b32_e32 v154, v128
	v_mov_b32_e32 v155, v131
	v_pk_add_f32 v[184:185], v[154:155], v[152:153]
	v_pk_mul_f32 v[154:155], v[48:49], s[40:41] op_sel_hi:[1,0]
	s_mov_b32 s42, 0x3e3c28d5
	v_pk_fma_f32 v[152:153], v[46:47], s[6:7], v[154:155] op_sel:[0,0,1] op_sel_hi:[1,0,0]
	v_pk_fma_f32 v[154:155], v[46:47], s[6:7], v[154:155] op_sel:[0,0,1] op_sel_hi:[1,0,0] neg_lo:[0,0,1] neg_hi:[0,0,1]
	v_mov_b32_e32 v156, v152
	v_mov_b32_e32 v157, v155
	v_pk_add_f32 v[160:161], v[0:1], v[156:157]
	v_pk_fma_f32 v[156:157], v[42:43], s[12:13], v[158:159] op_sel:[0,0,1] op_sel_hi:[1,0,0]
	v_pk_fma_f32 v[158:159], v[42:43], s[12:13], v[158:159] op_sel:[0,0,1] op_sel_hi:[1,0,0] neg_lo:[0,0,1] neg_hi:[0,0,1]
	v_mov_b32_e32 v162, v156
	v_mov_b32_e32 v163, v159
	v_pk_add_f32 v[164:165], v[162:163], v[160:161]
	v_pk_mul_f32 v[162:163], v[222:223], s[42:43] op_sel_hi:[1,0]
	s_mov_b32 s42, s17
	v_pk_fma_f32 v[160:161], v[38:39], s[18:19], v[162:163] op_sel:[0,0,1] op_sel_hi:[1,0,0]
	v_pk_fma_f32 v[162:163], v[38:39], s[18:19], v[162:163] op_sel:[0,0,1] op_sel_hi:[1,0,0] neg_lo:[0,0,1] neg_hi:[0,0,1]
	v_mov_b32_e32 v166, v160
	v_mov_b32_e32 v167, v163
	v_pk_add_f32 v[168:169], v[166:167], v[164:165]
	v_pk_mul_f32 v[166:167], v[54:55], s[44:45] op_sel_hi:[1,0]
	v_pk_mul_f32 v[32:33], v[44:45], s[44:45] op_sel_hi:[1,0]
	v_pk_fma_f32 v[164:165], v[52:53], s[20:21], v[166:167] op_sel:[0,0,1] op_sel_hi:[1,0,0]
	v_pk_fma_f32 v[166:167], v[52:53], s[20:21], v[166:167] op_sel:[0,0,1] op_sel_hi:[1,0,0] neg_lo:[0,0,1] neg_hi:[0,0,1]
	v_mov_b32_e32 v170, v164
	v_mov_b32_e32 v171, v167
	v_pk_add_f32 v[172:173], v[170:171], v[168:169]
	v_pk_mul_f32 v[170:171], v[58:59], s[42:43] op_sel_hi:[1,0]
	v_pk_fma_f32 v[18:19], v[42:43], s[20:21], v[32:33] op_sel:[0,0,1] op_sel_hi:[1,0,0]
	v_pk_fma_f32 v[168:169], v[56:57], s[16:17], v[170:171] op_sel:[0,0,1] op_sel_hi:[1,0,0]
	v_pk_fma_f32 v[170:171], v[56:57], s[16:17], v[170:171] op_sel:[0,0,1] op_sel_hi:[1,0,0] neg_lo:[0,0,1] neg_hi:[0,0,1]
	v_mov_b32_e32 v174, v168
	v_mov_b32_e32 v175, v171
	v_pk_add_f32 v[176:177], v[174:175], v[172:173]
	v_pk_mul_f32 v[174:175], v[68:69], s[34:35] op_sel_hi:[1,0]
	v_pk_fma_f32 v[32:33], v[42:43], s[20:21], v[32:33] op_sel:[0,0,1] op_sel_hi:[1,0,0] neg_lo:[0,0,1] neg_hi:[0,0,1]
	v_pk_fma_f32 v[172:173], v[66:67], s[14:15], v[174:175] op_sel:[0,0,1] op_sel_hi:[1,0,0]
	v_pk_fma_f32 v[174:175], v[66:67], s[14:15], v[174:175] op_sel:[0,0,1] op_sel_hi:[1,0,0] neg_lo:[0,0,1] neg_hi:[0,0,1]
	v_mov_b32_e32 v178, v172
	v_mov_b32_e32 v179, v175
	v_pk_add_f32 v[180:181], v[178:179], v[176:177]
	v_pk_mul_f32 v[178:179], v[80:81], s[46:47] op_sel_hi:[1,0]
	v_mov_b32_e32 v6, v18
	v_pk_fma_f32 v[176:177], v[76:77], s[10:11], v[178:179] op_sel:[0,0,1] op_sel_hi:[1,0,0]
	v_pk_fma_f32 v[178:179], v[76:77], s[10:11], v[178:179] op_sel:[0,0,1] op_sel_hi:[1,0,0] neg_lo:[0,0,1] neg_hi:[0,0,1]
	v_mov_b32_e32 v182, v176
	v_mov_b32_e32 v183, v179
	v_pk_add_f32 v[186:187], v[182:183], v[180:181]
	v_pk_mul_f32 v[182:183], v[114:115], s[26:27] op_sel_hi:[1,0]
	v_mov_b32_e32 v7, v33
	v_pk_fma_f32 v[180:181], v[108:109], s[8:9], v[182:183] op_sel:[0,0,1] op_sel_hi:[1,0,0]
	v_pk_fma_f32 v[182:183], v[108:109], s[8:9], v[182:183] op_sel:[0,0,1] op_sel_hi:[1,0,0] neg_lo:[0,0,1] neg_hi:[0,0,1]
	v_mov_b32_e32 v188, v180
	v_mov_b32_e32 v189, v183
	v_pk_add_f32 v[186:187], v[188:189], v[186:187]
	ds_write2_b64 v30, v[184:185], v[186:187] offset0:2 offset1:3
	v_pk_mul_f32 v[184:185], v[48:49], s[46:47] op_sel_hi:[1,0]
	s_mov_b32 s46, s13
	v_pk_fma_f32 v[186:187], v[46:47], s[10:11], v[184:185] op_sel:[0,0,1] op_sel_hi:[1,0,0]
	v_pk_fma_f32 v[184:185], v[46:47], s[10:11], v[184:185] op_sel:[0,0,1] op_sel_hi:[1,0,0] neg_lo:[0,0,1] neg_hi:[0,0,1]
	v_mov_b32_e32 v188, v186
	v_mov_b32_e32 v189, v185
	v_pk_add_f32 v[192:193], v[0:1], v[188:189]
	v_pk_mul_f32 v[188:189], v[44:45], s[28:29] op_sel_hi:[1,0]
	v_pk_mul_f32 v[64:65], v[64:65], s[8:9]
	v_pk_fma_f32 v[90:91], v[42:43], s[18:19], v[188:189] op_sel:[0,0,1] op_sel_hi:[1,0,0]
	v_pk_fma_f32 v[188:189], v[42:43], s[18:19], v[188:189] op_sel:[0,0,1] op_sel_hi:[1,0,0] neg_lo:[0,0,1] neg_hi:[0,0,1]
	v_mov_b32_e32 v194, v90
	v_mov_b32_e32 v195, v189
	v_pk_add_f32 v[196:197], v[194:195], v[192:193]
	v_pk_mul_f32 v[194:195], v[222:223], s[44:45] op_sel_hi:[1,0]
	v_pk_add_f32 v[64:65], v[146:147], v[64:65] neg_lo:[0,1] neg_hi:[0,1]
	v_pk_fma_f32 v[192:193], v[38:39], s[20:21], v[194:195] op_sel:[0,0,1] op_sel_hi:[1,0,0]
	v_pk_fma_f32 v[194:195], v[38:39], s[20:21], v[194:195] op_sel:[0,0,1] op_sel_hi:[1,0,0] neg_lo:[0,0,1] neg_hi:[0,0,1]
	v_mov_b32_e32 v198, v192
	v_mov_b32_e32 v199, v195
	v_pk_add_f32 v[200:201], v[198:199], v[196:197]
	v_pk_mul_f32 v[198:199], v[54:55], s[38:39] op_sel_hi:[1,0]
	v_mov_b64_e32 v[2:3], v[62:63]
	v_pk_fma_f32 v[196:197], v[52:53], s[14:15], v[198:199] op_sel:[0,0,1] op_sel_hi:[1,0,0]
	v_pk_fma_f32 v[198:199], v[52:53], s[14:15], v[198:199] op_sel:[0,0,1] op_sel_hi:[1,0,0] neg_lo:[0,0,1] neg_hi:[0,0,1]
	v_mov_b32_e32 v202, v196
	v_mov_b32_e32 v203, v199
	v_pk_add_f32 v[204:205], v[202:203], v[200:201]
	v_pk_mul_f32 v[202:203], v[58:59], s[40:41] op_sel_hi:[1,0]
	v_mov_b32_e32 v61, v65
	v_pk_fma_f32 v[200:201], v[56:57], s[6:7], v[202:203] op_sel:[0,0,1] op_sel_hi:[1,0,0]
	v_pk_fma_f32 v[202:203], v[56:57], s[6:7], v[202:203] op_sel:[0,0,1] op_sel_hi:[1,0,0] neg_lo:[0,0,1] neg_hi:[0,0,1]
	v_mov_b32_e32 v206, v200
	v_mov_b32_e32 v207, v203
	v_pk_add_f32 v[208:209], v[206:207], v[204:205]
	v_pk_mul_f32 v[206:207], v[68:69], s[26:27] op_sel_hi:[1,0]
	v_pk_mul_f32 v[64:65], v[74:75], s[6:7]
	v_pk_fma_f32 v[204:205], v[66:67], s[8:9], v[206:207] op_sel:[0,0,1] op_sel_hi:[1,0,0]
	v_pk_fma_f32 v[206:207], v[66:67], s[8:9], v[206:207] op_sel:[0,0,1] op_sel_hi:[1,0,0] neg_lo:[0,0,1] neg_hi:[0,0,1]
	v_mov_b32_e32 v210, v204
	v_mov_b32_e32 v211, v207
	v_pk_add_f32 v[212:213], v[210:211], v[208:209]
	v_pk_mul_f32 v[210:211], v[80:81], s[46:47] op_sel_hi:[1,0]
	v_pk_add_f32 v[64:65], v[2:3], v[64:65] neg_lo:[0,1] neg_hi:[0,1]
	v_pk_fma_f32 v[208:209], v[76:77], s[12:13], v[210:211] op_sel:[0,0,1] op_sel_hi:[1,0,0]
	v_pk_fma_f32 v[210:211], v[76:77], s[12:13], v[210:211] op_sel:[0,0,1] op_sel_hi:[1,0,0] neg_lo:[0,0,1] neg_hi:[0,0,1]
	v_mov_b32_e32 v214, v208
	v_mov_b32_e32 v215, v211
	v_pk_add_f32 v[216:217], v[214:215], v[212:213]
	v_pk_mul_f32 v[214:215], v[114:115], s[42:43] op_sel_hi:[1,0]
	v_mov_b64_e32 v[40:41], v[70:71]
	v_pk_fma_f32 v[212:213], v[108:109], s[16:17], v[214:215] op_sel:[0,0,1] op_sel_hi:[1,0,0]
	v_pk_fma_f32 v[214:215], v[108:109], s[16:17], v[214:215] op_sel:[0,0,1] op_sel_hi:[1,0,0] neg_lo:[0,0,1] neg_hi:[0,0,1]
	v_mov_b32_e32 v218, v212
	v_mov_b32_e32 v219, v215
	v_pk_add_f32 v[242:243], v[218:219], v[216:217]
	v_pk_mul_f32 v[216:217], v[48:49], s[22:23] op_sel_hi:[1,0]
	v_mov_b32_e32 v73, v65
	v_pk_fma_f32 v[218:219], v[46:47], s[20:21], v[216:217] op_sel:[0,0,1] op_sel_hi:[1,0,0]
	v_pk_fma_f32 v[216:217], v[46:47], s[20:21], v[216:217] op_sel:[0,0,1] op_sel_hi:[1,0,0] neg_lo:[0,0,1] neg_hi:[0,0,1]
	v_mov_b32_e32 v220, v218
	v_mov_b32_e32 v221, v217
	v_pk_add_f32 v[224:225], v[0:1], v[220:221]
	v_pk_mul_f32 v[220:221], v[44:45], s[48:49] op_sel_hi:[1,0]
	v_pk_mul_f32 v[64:65], v[84:85], s[10:11]
	v_pk_fma_f32 v[86:87], v[42:43], s[8:9], v[220:221] op_sel:[0,0,1] op_sel_hi:[1,0,0]
	v_pk_fma_f32 v[220:221], v[42:43], s[8:9], v[220:221] op_sel:[0,0,1] op_sel_hi:[1,0,0] neg_lo:[0,0,1] neg_hi:[0,0,1]
	v_mov_b32_e32 v226, v86
	v_mov_b32_e32 v227, v221
	v_pk_add_f32 v[228:229], v[226:227], v[224:225]
	v_pk_mul_f32 v[226:227], v[222:223], s[42:43] op_sel_hi:[1,0]
	v_pk_add_f32 v[64:65], v[40:41], v[64:65] neg_lo:[0,1] neg_hi:[0,1]
	v_pk_fma_f32 v[224:225], v[38:39], s[16:17], v[226:227] op_sel:[0,0,1] op_sel_hi:[1,0,0]
	v_pk_fma_f32 v[226:227], v[38:39], s[16:17], v[226:227] op_sel:[0,0,1] op_sel_hi:[1,0,0] neg_lo:[0,0,1] neg_hi:[0,0,1]
	v_mov_b32_e32 v230, v224
	v_mov_b32_e32 v231, v227
	v_pk_add_f32 v[232:233], v[230:231], v[228:229]
	v_pk_mul_f32 v[230:231], v[54:55], s[40:41] op_sel_hi:[1,0]
	s_mov_b32 s40, 0x3f7ee86f
	v_pk_fma_f32 v[228:229], v[52:53], s[6:7], v[230:231] op_sel:[0,0,1] op_sel_hi:[1,0,0]
	v_pk_fma_f32 v[230:231], v[52:53], s[6:7], v[230:231] op_sel:[0,0,1] op_sel_hi:[1,0,0] neg_lo:[0,0,1] neg_hi:[0,0,1]
	v_mov_b32_e32 v234, v228
	v_mov_b32_e32 v235, v231
	v_pk_add_f32 v[236:237], v[234:235], v[232:233]
	v_pk_mul_f32 v[234:235], v[58:59], s[28:29] op_sel_hi:[1,0]
	v_mov_b32_e32 v83, v65
	v_pk_fma_f32 v[232:233], v[56:57], s[18:19], v[234:235] op_sel:[0,0,1] op_sel_hi:[1,0,0]
	v_pk_fma_f32 v[234:235], v[56:57], s[18:19], v[234:235] op_sel:[0,0,1] op_sel_hi:[1,0,0] neg_lo:[0,0,1] neg_hi:[0,0,1]
	v_mov_b32_e32 v238, v232
	v_mov_b32_e32 v239, v235
	v_pk_add_f32 v[244:245], v[238:239], v[236:237]
	v_pk_mul_f32 v[238:239], v[68:69], s[40:41] op_sel_hi:[1,0]
	v_pk_mul_f32 v[64:65], v[106:107], s[12:13]
	v_pk_fma_f32 v[236:237], v[66:67], s[10:11], v[238:239] op_sel:[0,0,1] op_sel_hi:[1,0,0]
	v_pk_fma_f32 v[238:239], v[66:67], s[10:11], v[238:239] op_sel:[0,0,1] op_sel_hi:[1,0,0] neg_lo:[0,0,1] neg_hi:[0,0,1]
	v_mov_b32_e32 v246, v236
	v_mov_b32_e32 v247, v239
	v_pk_add_f32 v[244:245], v[246:247], v[244:245]
	v_pk_mul_f32 v[246:247], v[80:81], s[34:35] op_sel_hi:[1,0]
	v_pk_add_f32 v[64:65], v[190:191], v[64:65] neg_lo:[0,1] neg_hi:[0,1]
	v_pk_fma_f32 v[26:27], v[76:77], s[14:15], v[246:247] op_sel:[0,0,1] op_sel_hi:[1,0,0]
	v_pk_fma_f32 v[246:247], v[76:77], s[14:15], v[246:247] op_sel:[0,0,1] op_sel_hi:[1,0,0] neg_lo:[0,0,1] neg_hi:[0,0,1]
	v_mov_b32_e32 v250, v26
	v_mov_b32_e32 v251, v247
	v_pk_add_f32 v[244:245], v[250:251], v[244:245]
	v_pk_mul_f32 v[250:251], v[114:115], s[24:25] op_sel_hi:[1,0]
	v_accvgpr_read_b32 v2, a18
	v_pk_fma_f32 v[22:23], v[108:109], s[12:13], v[250:251] op_sel:[0,0,1] op_sel_hi:[1,0,0]
	v_pk_fma_f32 v[250:251], v[108:109], s[12:13], v[250:251] op_sel:[0,0,1] op_sel_hi:[1,0,0] neg_lo:[0,0,1] neg_hi:[0,0,1]
	v_mov_b32_e32 v254, v22
	v_mov_b32_e32 v255, v251
	v_pk_add_f32 v[244:245], v[254:255], v[244:245]
	ds_write2_b64 v30, v[242:243], v[244:245] offset0:4 offset1:5
	v_pk_mul_f32 v[242:243], v[48:49], s[24:25] op_sel_hi:[1,0]
	v_accvgpr_write_b32 a2, v78
	v_pk_fma_f32 v[244:245], v[46:47], s[12:13], v[242:243] op_sel:[0,0,1] op_sel_hi:[1,0,0]
	v_pk_fma_f32 v[242:243], v[46:47], s[12:13], v[242:243] op_sel:[0,0,1] op_sel_hi:[1,0,0] neg_lo:[0,0,1] neg_hi:[0,0,1]
	v_mov_b32_e32 v254, v244
	v_mov_b32_e32 v255, v243
	v_pk_add_f32 v[254:255], v[0:1], v[254:255]
	v_mov_b32_e32 v105, v65
	v_pk_add_f32 v[6:7], v[6:7], v[254:255]
	v_pk_mul_f32 v[254:255], v[222:223], s[34:35] op_sel_hi:[1,0]
	v_pk_mul_f32 v[64:65], v[126:127], s[14:15]
	v_pk_fma_f32 v[14:15], v[38:39], s[14:15], v[254:255] op_sel:[0,0,1] op_sel_hi:[1,0,0]
	v_pk_fma_f32 v[254:255], v[38:39], s[14:15], v[254:255] op_sel:[0,0,1] op_sel_hi:[1,0,0] neg_lo:[0,0,1] neg_hi:[0,0,1]
	v_mov_b32_e32 v36, v14
	v_mov_b32_e32 v37, v255
	v_pk_add_f32 v[6:7], v[36:37], v[6:7]
	v_pk_mul_f32 v[36:37], v[54:55], s[26:27] op_sel_hi:[1,0]
	v_accvgpr_read_b32 v3, a19
	v_pk_fma_f32 v[10:11], v[52:53], s[8:9], v[36:37] op_sel:[0,0,1] op_sel_hi:[1,0,0]
	v_pk_fma_f32 v[36:37], v[52:53], s[8:9], v[36:37] op_sel:[0,0,1] op_sel_hi:[1,0,0] neg_lo:[0,0,1] neg_hi:[0,0,1]
	v_mov_b32_e32 v62, v10
	v_mov_b32_e32 v63, v37
	v_pk_add_f32 v[6:7], v[62:63], v[6:7]
	v_pk_mul_f32 v[62:63], v[58:59], s[40:41] op_sel_hi:[1,0]
	v_accvgpr_write_b32 a3, v79
	v_pk_fma_f32 v[252:253], v[56:57], s[10:11], v[62:63] op_sel:[0,0,1] op_sel_hi:[1,0,0]
	v_pk_fma_f32 v[62:63], v[56:57], s[10:11], v[62:63] op_sel:[0,0,1] op_sel_hi:[1,0,0] neg_lo:[0,0,1] neg_hi:[0,0,1]
	v_mov_b32_e32 v248, v252
	v_mov_b32_e32 v249, v63
	v_pk_add_f32 v[6:7], v[248:249], v[6:7]
	v_pk_mul_f32 v[248:249], v[68:69], s[30:31] op_sel_hi:[1,0]
	v_pk_add_f32 v[64:65], v[2:3], v[64:65] neg_lo:[0,1] neg_hi:[0,1]
	v_pk_fma_f32 v[78:79], v[66:67], s[16:17], v[248:249] op_sel:[0,0,1] op_sel_hi:[1,0,0]
	v_pk_fma_f32 v[248:249], v[66:67], s[16:17], v[248:249] op_sel:[0,0,1] op_sel_hi:[1,0,0] neg_lo:[0,0,1] neg_hi:[0,0,1]
	v_accvgpr_read_b32 v2, a14
	v_mov_b32_e32 v70, v78
	v_mov_b32_e32 v71, v249
	v_pk_add_f32 v[60:61], v[0:1], v[60:61]
	v_mov_b32_e32 v133, v65
	v_pk_mul_f32 v[64:65], v[138:139], s[18:19]
	v_accvgpr_read_b32 v3, a15
	v_pk_add_f32 v[6:7], v[70:71], v[6:7]
	v_pk_mul_f32 v[70:71], v[80:81], s[28:29] op_sel_hi:[1,0]
	v_pk_add_f32 v[60:61], v[72:73], v[60:61]
	v_pk_add_f32 v[64:65], v[2:3], v[64:65] neg_lo:[0,1] neg_hi:[0,1]
	v_accvgpr_read_b32 v2, a16
	v_pk_fma_f32 v[120:121], v[76:77], s[18:19], v[70:71] op_sel:[0,0,1] op_sel_hi:[1,0,0]
	v_pk_fma_f32 v[70:71], v[76:77], s[18:19], v[70:71] op_sel:[0,0,1] op_sel_hi:[1,0,0] neg_lo:[0,0,1] neg_hi:[0,0,1]
	v_pk_add_f32 v[60:61], v[82:83], v[60:61]
	v_mov_b32_e32 v137, v65
	v_pk_mul_f32 v[64:65], v[142:143], s[16:17]
	v_accvgpr_read_b32 v3, a17
	v_mov_b32_e32 v98, v120
	v_mov_b32_e32 v99, v71
	v_pk_add_f32 v[60:61], v[104:105], v[60:61]
	v_pk_add_f32 v[64:65], v[2:3], v[64:65] neg_lo:[0,1] neg_hi:[0,1]
	v_accvgpr_read_b32 v2, a20
	v_pk_add_f32 v[6:7], v[98:99], v[6:7]
	v_pk_mul_f32 v[98:99], v[114:115], s[36:37] op_sel_hi:[1,0]
	v_pk_add_f32 v[60:61], v[132:133], v[60:61]
	v_mov_b32_e32 v145, v65
	v_pk_mul_f32 v[64:65], v[150:151], s[20:21]
	v_accvgpr_read_b32 v3, a21
	v_pk_fma_f32 v[140:141], v[108:109], s[6:7], v[98:99] op_sel:[0,0,1] op_sel_hi:[1,0,0]
	v_pk_fma_f32 v[98:99], v[108:109], s[6:7], v[98:99] op_sel:[0,0,1] op_sel_hi:[1,0,0] neg_lo:[0,0,1] neg_hi:[0,0,1]
	v_pk_add_f32 v[60:61], v[136:137], v[60:61]
	v_pk_add_f32 v[64:65], v[2:3], v[64:65] neg_lo:[0,1] neg_hi:[0,1]
	v_mov_b32_e32 v134, v140
	v_mov_b32_e32 v135, v99
	v_pk_add_f32 v[60:61], v[144:145], v[60:61]
	v_mov_b32_e32 v149, v65
	v_pk_add_f32 v[6:7], v[134:135], v[6:7]
	v_pk_add_f32 v[60:61], v[148:149], v[60:61]
	ds_write2_b64 v30, v[6:7], v[60:61] offset0:6 offset1:7
	v_pk_mul_f32 v[6:7], v[48:49], s[28:29] op_sel_hi:[1,0]
	v_pk_mul_f32 v[44:45], v[44:45], s[38:39] op_sel_hi:[1,0]
	v_pk_fma_f32 v[48:49], v[46:47], s[18:19], v[6:7] op_sel:[0,0,1] op_sel_hi:[1,0,0]
	v_pk_fma_f32 v[6:7], v[46:47], s[18:19], v[6:7] op_sel:[0,0,1] op_sel_hi:[1,0,0] neg_lo:[0,0,1] neg_hi:[0,0,1]
	v_pk_fma_f32 v[46:47], v[42:43], s[14:15], v[44:45] op_sel:[0,0,1] op_sel_hi:[1,0,0]
	v_pk_fma_f32 v[42:43], v[42:43], s[14:15], v[44:45] op_sel:[0,0,1] op_sel_hi:[1,0,0] neg_lo:[0,0,1] neg_hi:[0,0,1]
	v_mov_b32_e32 v44, v48
	v_mov_b32_e32 v45, v7
	v_pk_add_f32 v[44:45], v[0:1], v[44:45]
	v_mov_b32_e32 v60, v46
	v_mov_b32_e32 v61, v43
	v_pk_mul_f32 v[40:41], v[222:223], s[26:27] op_sel_hi:[1,0]
	v_pk_add_f32 v[44:45], v[60:61], v[44:45]
	v_pk_fma_f32 v[60:61], v[38:39], s[8:9], v[40:41] op_sel:[0,0,1] op_sel_hi:[1,0,0]
	v_pk_fma_f32 v[38:39], v[38:39], s[8:9], v[40:41] op_sel:[0,0,1] op_sel_hi:[1,0,0] neg_lo:[0,0,1] neg_hi:[0,0,1]
	v_mov_b32_e32 v40, v60
	v_mov_b32_e32 v41, v39
	v_pk_add_f32 v[40:41], v[40:41], v[44:45]
	v_pk_mul_f32 v[44:45], v[54:55], s[42:43] op_sel_hi:[1,0]
	v_mov_b32_e32 v7, v49
	v_pk_fma_f32 v[54:55], v[52:53], s[16:17], v[44:45] op_sel:[0,0,1] op_sel_hi:[1,0,0]
	v_pk_fma_f32 v[44:45], v[52:53], s[16:17], v[44:45] op_sel:[0,0,1] op_sel_hi:[1,0,0] neg_lo:[0,0,1] neg_hi:[0,0,1]
	v_mov_b32_e32 v52, v54
	v_mov_b32_e32 v53, v45
	v_pk_add_f32 v[40:41], v[52:53], v[40:41]
	v_pk_mul_f32 v[52:53], v[58:59], s[24:25] op_sel_hi:[1,0]
	v_mov_b32_e32 v43, v47
	v_pk_fma_f32 v[58:59], v[56:57], s[12:13], v[52:53] op_sel:[0,0,1] op_sel_hi:[1,0,0]
	v_pk_fma_f32 v[52:53], v[56:57], s[12:13], v[52:53] op_sel:[0,0,1] op_sel_hi:[1,0,0] neg_lo:[0,0,1] neg_hi:[0,0,1]
	v_mov_b32_e32 v56, v58
	v_mov_b32_e32 v57, v53
	v_pk_add_f32 v[40:41], v[56:57], v[40:41]
	v_pk_mul_f32 v[56:57], v[68:69], s[36:37] op_sel_hi:[1,0]
	v_pk_add_f32 v[6:7], v[0:1], v[6:7]
	v_pk_fma_f32 v[64:65], v[66:67], s[6:7], v[56:57] op_sel:[0,0,1] op_sel_hi:[1,0,0]
	v_pk_fma_f32 v[56:57], v[66:67], s[6:7], v[56:57] op_sel:[0,0,1] op_sel_hi:[1,0,0] neg_lo:[0,0,1] neg_hi:[0,0,1]
	v_mov_b32_e32 v66, v64
	v_mov_b32_e32 v67, v57
	v_pk_add_f32 v[40:41], v[66:67], v[40:41]
	v_pk_mul_f32 v[66:67], v[80:81], s[22:23] op_sel_hi:[1,0]
	v_pk_add_f32 v[6:7], v[42:43], v[6:7]
	v_mov_b32_e32 v39, v61
	v_pk_fma_f32 v[68:69], v[76:77], s[20:21], v[66:67] op_sel:[0,0,1] op_sel_hi:[1,0,0]
	v_pk_fma_f32 v[66:67], v[76:77], s[20:21], v[66:67] op_sel:[0,0,1] op_sel_hi:[1,0,0] neg_lo:[0,0,1] neg_hi:[0,0,1]
	v_pk_add_f32 v[6:7], v[38:39], v[6:7]
	v_mov_b32_e32 v45, v55
	v_mov_b32_e32 v72, v68
	;; [unrolled: 1-line block ×3, first 2 shown]
	v_pk_add_f32 v[6:7], v[44:45], v[6:7]
	v_mov_b32_e32 v53, v59
	v_pk_add_f32 v[40:41], v[72:73], v[40:41]
	v_pk_mul_f32 v[72:73], v[114:115], s[40:41] op_sel_hi:[1,0]
	v_pk_add_f32 v[6:7], v[52:53], v[6:7]
	v_mov_b32_e32 v57, v65
	v_pk_fma_f32 v[74:75], v[108:109], s[10:11], v[72:73] op_sel:[0,0,1] op_sel_hi:[1,0,0]
	v_pk_fma_f32 v[72:73], v[108:109], s[10:11], v[72:73] op_sel:[0,0,1] op_sel_hi:[1,0,0] neg_lo:[0,0,1] neg_hi:[0,0,1]
	v_pk_add_f32 v[6:7], v[56:57], v[6:7]
	v_mov_b32_e32 v67, v69
	v_mov_b32_e32 v76, v74
	;; [unrolled: 1-line block ×3, first 2 shown]
	v_pk_add_f32 v[6:7], v[66:67], v[6:7]
	v_mov_b32_e32 v73, v75
	v_pk_add_f32 v[40:41], v[76:77], v[40:41]
	v_pk_add_f32 v[6:7], v[72:73], v[6:7]
	v_mov_b32_e32 v243, v245
	ds_write2_b64 v30, v[40:41], v[6:7] offset0:8 offset1:9
	v_mov_b32_e32 v33, v19
	v_pk_add_f32 v[6:7], v[0:1], v[242:243]
	v_mov_b32_e32 v255, v15
	v_pk_add_f32 v[6:7], v[32:33], v[6:7]
	;; [unrolled: 2-line block ×6, first 2 shown]
	v_accvgpr_read_b32 v79, a3
	v_pk_add_f32 v[6:7], v[70:71], v[6:7]
	v_mov_b32_e32 v99, v141
	v_accvgpr_read_b32 v78, a2
	v_pk_add_f32 v[6:7], v[98:99], v[6:7]
	v_mov_b32_e32 v217, v219
	v_mov_b32_e32 v185, v187
	ds_write2_b64 v30, v[78:79], v[6:7] offset0:10 offset1:11
	v_mov_b32_e32 v221, v87
	v_pk_add_f32 v[6:7], v[0:1], v[216:217]
	v_mov_b32_e32 v189, v91
	v_pk_add_f32 v[10:11], v[0:1], v[184:185]
	v_pk_add_f32 v[6:7], v[220:221], v[6:7]
	v_mov_b32_e32 v227, v225
	v_pk_add_f32 v[10:11], v[188:189], v[10:11]
	v_mov_b32_e32 v195, v193
	;; [unrolled: 2-line block ×12, first 2 shown]
	v_pk_add_f32 v[6:7], v[250:251], v[6:7]
	v_pk_add_f32 v[10:11], v[214:215], v[10:11]
	v_mov_b32_e32 v155, v153
	v_mov_b32_e32 v89, v5
	v_accvgpr_read_b32 v5, a13
	ds_write2_b64 v30, v[6:7], v[10:11] offset0:12 offset1:13
	v_pk_add_f32 v[6:7], v[0:1], v[154:155]
	v_mov_b32_e32 v159, v157
	v_pk_add_f32 v[10:11], v[0:1], v[88:89]
	v_mov_b32_e32 v93, v9
	;; [unrolled: 2-line block ×8, first 2 shown]
	v_pk_add_f32 v[0:1], v[12:13], v[0:1]
	v_accvgpr_read_b32 v17, a5
	v_pk_add_f32 v[6:7], v[166:167], v[6:7]
	v_mov_b32_e32 v171, v169
	v_pk_add_f32 v[10:11], v[102:103], v[10:11]
	v_mov_b32_e32 v113, v111
	v_pk_add_f32 v[0:1], v[16:17], v[0:1]
	v_accvgpr_read_b32 v21, a7
	v_pk_add_f32 v[6:7], v[170:171], v[6:7]
	v_mov_b32_e32 v175, v173
	v_pk_add_f32 v[10:11], v[112:113], v[10:11]
	v_mov_b32_e32 v119, v117
	;; [unrolled: 6-line block ×3, first 2 shown]
	v_pk_add_f32 v[0:1], v[24:25], v[0:1]
	v_accvgpr_read_b32 v29, a11
	v_pk_add_f32 v[6:7], v[178:179], v[6:7]
	v_mov_b32_e32 v183, v181
	v_accvgpr_read_b32 v111, a1
	v_pk_add_f32 v[10:11], v[124:125], v[10:11]
	v_mov_b32_e32 v131, v129
	v_pk_add_f32 v[0:1], v[28:29], v[0:1]
	v_mov_b32_e32 v51, v31
	v_pk_add_f32 v[6:7], v[182:183], v[6:7]
	v_accvgpr_read_b32 v110, a0
	v_pk_add_f32 v[10:11], v[130:131], v[10:11]
	v_pk_add_f32 v[0:1], v[50:51], v[0:1]
	ds_write2_b64 v30, v[6:7], v[10:11] offset0:14 offset1:15
	ds_write_b64 v30, v[0:1] offset:128
.LBB0_13:
	s_or_b64 exec, exec, s[2:3]
	s_movk_i32 s2, 0xf1
	v_mul_lo_u16_sdwa v0, v34, s2 dst_sel:DWORD dst_unused:UNUSED_PAD src0_sel:BYTE_0 src1_sel:DWORD
	v_lshrrev_b16_e32 v35, 12, v0
	v_mul_lo_u16_e32 v0, 17, v35
	v_sub_u16_e32 v36, v34, v0
	v_mov_b32_e32 v0, 9
	v_mul_u32_u24_sdwa v0, v36, v0 dst_sel:DWORD dst_unused:UNUSED_PAD src0_sel:BYTE_0 src1_sel:DWORD
	v_lshlrev_b32_e32 v16, 3, v0
	s_waitcnt lgkmcnt(0)
	s_barrier
	global_load_dwordx4 v[0:3], v16, s[4:5] offset:32
	global_load_dwordx4 v[4:7], v16, s[4:5] offset:48
	global_load_dwordx2 v[32:33], v16, s[4:5] offset:64
	global_load_dwordx4 v[8:11], v16, s[4:5]
	global_load_dwordx4 v[12:15], v16, s[4:5] offset:16
	v_add_u32_e32 v20, 0xa00, v240
	v_add_u32_e32 v28, 0x1600, v240
	;; [unrolled: 1-line block ×3, first 2 shown]
	ds_read2_b64 v[16:19], v240 offset1:187
	v_add_u32_e32 v37, 0x2e00, v240
	ds_read2_b64 v[20:23], v20 offset0:54 offset1:241
	ds_read2_b64 v[24:27], v24 offset0:34 offset1:221
	;; [unrolled: 1-line block ×4, first 2 shown]
	v_mov_b32_e32 v42, 3
	v_lshlrev_b32_sdwa v37, v42, v36 dst_sel:DWORD dst_unused:UNUSED_PAD src0_sel:DWORD src1_sel:BYTE_0
	s_waitcnt lgkmcnt(2)
	v_mov_b32_e32 v36, v25
	v_mov_b32_e32 v42, v27
	s_waitcnt lgkmcnt(0)
	v_mov_b32_e32 v46, v41
	v_mov_b32_e32 v44, v39
	s_mov_b32 s2, 0x3e9e377a
	s_mov_b32 s3, 0x3f167918
	;; [unrolled: 1-line block ×4, first 2 shown]
	v_mul_u32_u24_e32 v35, 0x550, v35
	s_mov_b32 s10, 0x3f4f1bbd
	v_add3_u32 v35, 0, v35, v37
	s_mov_b32 s12, s3
	s_mov_b32 s13, s10
	;; [unrolled: 1-line block ×3, first 2 shown]
	s_barrier
	s_waitcnt vmcnt(4)
	v_pk_mul_f32 v[48:49], v[24:25], v[2:3]
	s_waitcnt vmcnt(3)
	v_pk_mul_f32 v[50:51], v[26:27], v[4:5]
	;; [unrolled: 2-line block ×3, first 2 shown]
	s_waitcnt vmcnt(1)
	v_pk_mul_f32 v[60:61], v[8:9], v[18:19] op_sel:[0,1]
	v_pk_mul_f32 v[62:63], v[10:11], v[20:21] op_sel:[0,1]
	s_waitcnt vmcnt(0)
	v_pk_mul_f32 v[64:65], v[12:13], v[22:23] op_sel:[0,1]
	v_pk_mul_f32 v[66:67], v[14:15], v[28:29] op_sel:[0,1]
	;; [unrolled: 1-line block ×3, first 2 shown]
	v_mov_b32_e32 v72, v50
	v_mov_b32_e32 v73, v56
	;; [unrolled: 1-line block ×5, first 2 shown]
	v_pk_mul_f32 v[54:55], v[38:39], v[6:7]
	v_mov_b32_e32 v58, v33
	v_pk_fma_f32 v[50:51], v[8:9], v[18:19], v[60:61] op_sel:[0,0,1] op_sel_hi:[1,0,0]
	v_pk_fma_f32 v[8:9], v[8:9], v[18:19], v[60:61] op_sel:[0,0,1] op_sel_hi:[1,0,0] neg_lo:[1,0,0] neg_hi:[1,0,0]
	v_pk_fma_f32 v[18:19], v[10:11], v[20:21], v[62:63] op_sel:[0,0,1] op_sel_hi:[1,1,0]
	v_pk_fma_f32 v[10:11], v[10:11], v[20:21], v[62:63] op_sel:[0,0,1] op_sel_hi:[1,0,0] neg_lo:[1,0,0] neg_hi:[1,0,0]
	;; [unrolled: 2-line block ×5, first 2 shown]
	v_pk_add_f32 v[30:31], v[72:73], v[56:57]
	v_mov_b32_e32 v54, v7
	v_mov_b32_e32 v70, v49
	v_pk_mul_f32 v[48:49], v[24:25], v[48:49]
	v_pk_mul_f32 v[26:27], v[26:27], v[52:53]
	v_mov_b32_e32 v52, v55
	v_pk_mul_f32 v[40:41], v[40:41], v[58:59]
	v_mov_b32_e32 v19, v11
	v_mov_b32_e32 v23, v15
	;; [unrolled: 1-line block ×6, first 2 shown]
	v_pk_mul_f32 v[54:55], v[38:39], v[54:55]
	v_pk_fma_f32 v[24:25], v[24:25], v[2:3], v[70:71]
	v_pk_fma_f32 v[2:3], v[36:37], v[2:3], v[48:49] neg_lo:[0,0,1] neg_hi:[0,0,1]
	v_pk_fma_f32 v[4:5], v[42:43], v[4:5], v[26:27] neg_lo:[0,0,1] neg_hi:[0,0,1]
	v_pk_fma_f32 v[26:27], v[38:39], v[6:7], v[52:53]
	v_pk_fma_f32 v[32:33], v[46:47], v[32:33], v[40:41] neg_lo:[0,0,1] neg_hi:[0,0,1]
	v_mov_b32_e32 v0, v13
	v_pk_add_f32 v[38:39], v[10:11], v[14:15] neg_lo:[0,1] neg_hi:[0,1]
	v_pk_fma_f32 v[6:7], v[44:45], v[6:7], v[54:55] neg_lo:[0,0,1] neg_hi:[0,0,1]
	v_mov_b32_e32 v8, v1
	v_mov_b32_e32 v25, v2
	v_pk_add_f32 v[2:3], v[0:1], v[32:33] neg_lo:[0,1] neg_hi:[0,1]
	v_mov_b32_e32 v0, v39
	v_mov_b32_e32 v27, v6
	v_add_f32_e32 v12, v28, v30
	v_pk_add_f32 v[6:7], v[8:9], v[4:5] neg_lo:[0,1] neg_hi:[0,1]
	v_pk_add_f32 v[38:39], v[38:39], v[0:1]
	v_fma_f32 v3, -0.5, v12, v50
	v_mov_b32_e32 v39, v6
	v_fmamk_f32 v5, v2, 0xbf737871, v3
	v_pk_mul_f32 v[38:39], v[38:39], s[2:3]
	v_pk_add_f32 v[10:11], v[14:15], v[10:11] neg_lo:[0,1] neg_hi:[0,1]
	v_sub_f32_e32 v0, v5, v39
	v_fmac_f32_e32 v3, 0x3f737871, v2
	v_mov_b32_e32 v14, v11
	v_add_f32_e32 v8, v38, v0
	v_add_f32_e32 v0, v39, v3
	;; [unrolled: 1-line block ×3, first 2 shown]
	v_mov_b32_e32 v5, v50
	v_pk_add_f32 v[10:11], v[10:11], v[14:15]
	v_fmac_f32_e32 v5, -0.5, v3
	v_mov_b32_e32 v11, v2
	v_fmamk_f32 v7, v6, 0x3f737871, v5
	v_pk_mul_f32 v[2:3], v[10:11], s[2:3]
	v_fmac_f32_e32 v5, 0xbf737871, v6
	v_mov_b32_e32 v51, v9
	v_mov_b32_e32 v21, v13
	v_sub_f32_e32 v7, v7, v3
	v_add_f32_e32 v3, v3, v5
	v_mov_b32_e32 v29, v1
	v_add_f32_e32 v10, v2, v7
	v_add_f32_e32 v6, v2, v3
	v_pk_add_f32 v[2:3], v[50:51], v[20:21]
	v_mov_b32_e32 v14, v30
	v_pk_add_f32 v[2:3], v[2:3], v[28:29]
	v_mov_b32_e32 v15, v4
	;; [unrolled: 2-line block ×3, first 2 shown]
	v_mov_b32_e32 v15, v32
	v_add_f32_e32 v12, v38, v0
	v_mov_b32_e32 v0, v31
	v_pk_add_f32 v[14:15], v[2:3], v[14:15]
	v_add_f32_e32 v2, v1, v4
	v_fma_f32 v7, -0.5, v2, v9
	v_pk_add_f32 v[2:3], v[20:21], v[0:1] neg_lo:[0,1] neg_hi:[0,1]
	v_pk_add_f32 v[20:21], v[28:29], v[30:31] neg_lo:[0,1] neg_hi:[0,1]
	v_mov_b32_e32 v28, v13
	v_mov_b32_e32 v29, v32
	;; [unrolled: 1-line block ×4, first 2 shown]
	v_pk_add_f32 v[4:5], v[28:29], v[0:1] neg_lo:[0,1] neg_hi:[0,1]
	v_fmamk_f32 v3, v2, 0x3f737871, v7
	v_mov_b32_e32 v30, v5
	v_pk_add_f32 v[4:5], v[4:5], v[30:31]
	v_fmac_f32_e32 v7, 0xbf737871, v2
	v_mov_b32_e32 v5, v20
	v_pk_mul_f32 v[4:5], v[4:5], s[2:3]
	v_pk_add_f32 v[0:1], v[0:1], v[28:29] neg_lo:[0,1] neg_hi:[0,1]
	v_add_f32_e32 v3, v5, v3
	v_add_f32_e32 v30, v4, v3
	v_sub_f32_e32 v3, v7, v5
	v_add_f32_e32 v38, v4, v3
	v_mov_b32_e32 v4, v1
	v_add_f32_e32 v3, v13, v32
	v_pk_add_f32 v[0:1], v[0:1], v[4:5]
	v_fmac_f32_e32 v9, -0.5, v3
	v_mov_b32_e32 v1, v2
	v_fmamk_f32 v3, v20, 0xbf737871, v9
	v_pk_mul_f32 v[0:1], v[0:1], s[2:3]
	v_pk_add_f32 v[28:29], v[22:23], v[24:25]
	v_add_f32_e32 v2, v1, v3
	v_pk_add_f32 v[32:33], v[18:19], v[26:27] neg_lo:[0,1] neg_hi:[0,1]
	v_add_f32_e32 v4, v0, v2
	v_pk_add_f32 v[2:3], v[26:27], v[24:25] neg_lo:[0,1] neg_hi:[0,1]
	v_pk_fma_f32 v[28:29], v[28:29], 0.5, v[16:17] op_sel_hi:[1,0,1] neg_lo:[1,0,0] neg_hi:[1,0,0]
	v_pk_mul_f32 v[40:41], v[32:33], s[6:7] op_sel_hi:[1,0]
	v_pk_add_f32 v[42:43], v[22:23], v[24:25] neg_lo:[0,1] neg_hi:[0,1]
	v_pk_add_f32 v[46:47], v[18:19], v[22:23] neg_lo:[0,1] neg_hi:[0,1]
	v_pk_mul_f32 v[44:45], v[42:43], s[8:9] op_sel_hi:[1,0]
	v_pk_add_f32 v[46:47], v[46:47], v[2:3]
	v_pk_add_f32 v[2:3], v[28:29], v[40:41] op_sel:[0,1] op_sel_hi:[1,0] neg_lo:[0,1] neg_hi:[0,1]
	v_pk_add_f32 v[28:29], v[28:29], v[40:41] op_sel:[0,1] op_sel_hi:[1,0]
	v_pk_add_f32 v[40:41], v[2:3], v[44:45] op_sel:[0,1] op_sel_hi:[1,0] neg_lo:[0,1] neg_hi:[0,1]
	v_pk_add_f32 v[28:29], v[28:29], v[44:45] op_sel:[0,1] op_sel_hi:[1,0]
	v_pk_add_f32 v[36:37], v[16:17], v[18:19]
	v_mov_b32_e32 v2, v40
	v_mov_b32_e32 v3, v29
	v_pk_add_f32 v[36:37], v[36:37], v[22:23]
	v_fmac_f32_e32 v9, 0x3f737871, v20
	v_pk_fma_f32 v[44:45], v[46:47], s[2:3], v[2:3] op_sel_hi:[1,0,1]
	v_pk_mul_f32 v[2:3], v[30:31], s[12:13] op_sel_hi:[0,1]
	s_mov_b32 s7, s2
	v_pk_add_f32 v[36:37], v[36:37], v[24:25]
	v_sub_f32_e32 v1, v9, v1
	v_pk_fma_f32 v[30:31], v[8:9], s[10:11], v[2:3] neg_lo:[0,0,1] neg_hi:[0,0,1]
	v_pk_fma_f32 v[2:3], v[8:9], s[10:11], v[2:3] op_sel_hi:[0,1,1]
	v_pk_add_f32 v[8:9], v[24:25], v[26:27] neg_lo:[0,1] neg_hi:[0,1]
	v_pk_add_f32 v[24:25], v[18:19], v[26:27]
	v_pk_add_f32 v[18:19], v[22:23], v[18:19] neg_lo:[0,1] neg_hi:[0,1]
	s_mov_b32 s10, s2
	s_mov_b32 s11, s6
	v_pk_mul_f32 v[4:5], v[4:5], s[6:7] op_sel_hi:[0,1]
	v_pk_add_f32 v[8:9], v[18:19], v[8:9]
	v_pk_fma_f32 v[18:19], v[10:11], s[10:11], v[4:5] neg_lo:[0,0,1] neg_hi:[0,0,1]
	v_pk_fma_f32 v[4:5], v[10:11], s[10:11], v[4:5] op_sel_hi:[0,1,1]
	v_pk_fma_f32 v[16:17], v[24:25], 0.5, v[16:17] op_sel_hi:[1,0,1] neg_lo:[1,0,0] neg_hi:[1,0,0]
	v_mov_b32_e32 v19, v5
	v_pk_mul_f32 v[4:5], v[42:43], s[6:7] op_sel_hi:[1,0]
	v_pk_mul_f32 v[10:11], v[32:33], s[8:9] op_sel_hi:[1,0]
	v_pk_add_f32 v[22:23], v[16:17], v[4:5] op_sel:[0,1] op_sel_hi:[1,0]
	v_pk_add_f32 v[4:5], v[16:17], v[4:5] op_sel:[0,1] op_sel_hi:[1,0] neg_lo:[0,1] neg_hi:[0,1]
	v_add_f32_e32 v20, v0, v1
	v_pk_add_f32 v[16:17], v[4:5], v[10:11] op_sel:[0,1] op_sel_hi:[1,0]
	v_pk_add_f32 v[10:11], v[22:23], v[10:11] op_sel:[0,1] op_sel_hi:[1,0] neg_lo:[0,1] neg_hi:[0,1]
	v_mov_b32_e32 v5, v17
	v_mov_b32_e32 v4, v10
	;; [unrolled: 1-line block ×3, first 2 shown]
	v_pk_fma_f32 v[22:23], v[8:9], s[2:3], v[4:5] op_sel_hi:[1,0,1]
	s_mov_b32 s8, 0xbe9e377a
	s_mov_b32 s9, s6
	v_pk_mul_f32 v[20:21], v[20:21], s[6:7] op_sel_hi:[0,1]
	v_pk_fma_f32 v[16:17], v[8:9], s[2:3], v[16:17] op_sel_hi:[1,0,1]
	s_mov_b32 s6, 0xbf4f1bbd
	s_mov_b32 s7, s3
	v_pk_mul_f32 v[8:9], v[38:39], s[12:13] op_sel_hi:[0,1]
	v_mov_b32_e32 v29, v41
	v_pk_add_f32 v[36:37], v[36:37], v[26:27]
	v_mov_b32_e32 v31, v3
	v_pk_fma_f32 v[20:21], v[6:7], s[8:9], v[20:21] op_sel_hi:[0,1,1] neg_lo:[0,0,1] neg_hi:[0,0,1]
	v_pk_fma_f32 v[24:25], v[12:13], s[6:7], v[8:9] op_sel_hi:[0,1,1] neg_lo:[0,0,1] neg_hi:[0,0,1]
	v_pk_fma_f32 v[26:27], v[46:47], s[2:3], v[28:29] op_sel_hi:[1,0,1]
	s_movk_i32 s2, 0xaa
	v_pk_add_f32 v[0:1], v[36:37], v[14:15]
	v_pk_add_f32 v[2:3], v[44:45], v[30:31]
	;; [unrolled: 1-line block ×5, first 2 shown]
	v_pk_add_f32 v[10:11], v[36:37], v[14:15] neg_lo:[0,1] neg_hi:[0,1]
	v_pk_add_f32 v[12:13], v[44:45], v[30:31] neg_lo:[0,1] neg_hi:[0,1]
	v_pk_add_f32 v[14:15], v[22:23], v[18:19] neg_lo:[0,1] neg_hi:[0,1]
	v_pk_add_f32 v[16:17], v[16:17], v[20:21] neg_lo:[0,1] neg_hi:[0,1]
	v_pk_add_f32 v[18:19], v[26:27], v[24:25] neg_lo:[0,1] neg_hi:[0,1]
	v_cmp_gt_u32_e32 vcc, s2, v34
	ds_write2_b64 v35, v[0:1], v[2:3] offset1:17
	ds_write2_b64 v35, v[4:5], v[6:7] offset0:34 offset1:51
	ds_write2_b64 v35, v[8:9], v[10:11] offset0:68 offset1:85
	;; [unrolled: 1-line block ×4, first 2 shown]
	s_waitcnt lgkmcnt(0)
	s_barrier
	s_and_saveexec_b64 s[2:3], vcc
	s_cbranch_execz .LBB0_15
; %bb.14:
	v_add_u32_e32 v4, 0x800, v240
	v_add_u32_e32 v8, 0x1400, v240
	;; [unrolled: 1-line block ×4, first 2 shown]
	ds_read2_b64 v[0:3], v240 offset1:170
	ds_read2_b64 v[4:7], v4 offset0:84 offset1:254
	ds_read2_b64 v[8:11], v8 offset0:40 offset1:210
	;; [unrolled: 1-line block ×4, first 2 shown]
	ds_read_b64 v[78:79], v240 offset:13600
.LBB0_15:
	s_or_b64 exec, exec, s[2:3]
	s_waitcnt lgkmcnt(0)
	s_barrier
	s_and_saveexec_b64 s[2:3], vcc
	s_cbranch_execz .LBB0_17
; %bb.16:
	v_add_u32_e32 v20, 0xffffff56, v34
	v_cndmask_b32_e32 v20, v20, v34, vcc
	v_mul_i32_i24_e32 v20, 10, v20
	v_mov_b32_e32 v21, 0
	v_lshl_add_u64 v[32:33], v[20:21], 3, s[4:5]
	global_load_dwordx4 v[20:23], v[32:33], off offset:1224
	global_load_dwordx4 v[24:27], v[32:33], off offset:1288
	;; [unrolled: 1-line block ×5, first 2 shown]
	v_mov_b32_e32 v32, v3
	v_mov_b32_e32 v36, v5
	;; [unrolled: 1-line block ×9, first 2 shown]
	s_mov_b32 s16, 0xbf0a6770
	s_mov_b32 s6, 0x3f575c64
	;; [unrolled: 1-line block ×12, first 2 shown]
	s_waitcnt vmcnt(4)
	v_pk_mul_f32 v[32:33], v[32:33], v[20:21] op_sel_hi:[0,1]
	s_waitcnt vmcnt(3)
	v_pk_mul_f32 v[60:61], v[78:79], v[26:27] op_sel:[1,0]
	v_pk_mul_f32 v[36:37], v[36:37], v[22:23] op_sel_hi:[0,1]
	v_pk_mul_f32 v[46:47], v[46:47], v[24:25] op_sel_hi:[0,1]
	s_waitcnt vmcnt(1)
	v_pk_mul_f32 v[50:51], v[50:51], v[40:41] op_sel_hi:[0,1]
	s_waitcnt vmcnt(0)
	v_pk_mul_f32 v[56:57], v[56:57], v[42:43] op_sel_hi:[0,1]
	v_pk_fma_f32 v[62:63], v[78:79], v[26:27], v[60:61] op_sel:[0,0,1] op_sel_hi:[1,1,0]
	v_pk_fma_f32 v[26:27], v[78:79], v[26:27], v[60:61] op_sel:[0,0,1] op_sel_hi:[0,1,0] neg_lo:[1,0,0] neg_hi:[1,0,0]
	v_pk_fma_f32 v[60:61], v[18:19], v[24:25], v[46:47] op_sel:[0,0,1] op_sel_hi:[1,1,0]
	v_pk_fma_f32 v[18:19], v[18:19], v[24:25], v[46:47] op_sel:[0,0,1] op_sel_hi:[0,1,0] neg_lo:[1,0,0] neg_hi:[1,0,0]
	v_pk_fma_f32 v[24:25], v[4:5], v[22:23], v[36:37] op_sel:[0,0,1] op_sel_hi:[1,1,0]
	v_pk_fma_f32 v[4:5], v[4:5], v[22:23], v[36:37] op_sel:[0,0,1] op_sel_hi:[0,1,0] neg_lo:[1,0,0] neg_hi:[1,0,0]
	v_pk_fma_f32 v[22:23], v[16:17], v[40:41], v[50:51] op_sel:[0,0,1] op_sel_hi:[1,1,0]
	v_pk_fma_f32 v[16:17], v[16:17], v[40:41], v[50:51] op_sel:[0,0,1] op_sel_hi:[0,1,0] neg_lo:[1,0,0] neg_hi:[1,0,0]
	v_pk_fma_f32 v[40:41], v[10:11], v[42:43], v[56:57] op_sel:[0,0,1] op_sel_hi:[1,1,0]
	v_pk_fma_f32 v[10:11], v[10:11], v[42:43], v[56:57] op_sel:[0,0,1] op_sel_hi:[0,1,0] neg_lo:[1,0,0] neg_hi:[1,0,0]
	v_pk_fma_f32 v[42:43], v[2:3], v[20:21], v[32:33] op_sel:[0,0,1] op_sel_hi:[1,1,0]
	v_pk_fma_f32 v[2:3], v[2:3], v[20:21], v[32:33] op_sel:[0,0,1] op_sel_hi:[0,1,0] neg_lo:[1,0,0] neg_hi:[1,0,0]
	v_pk_mul_f32 v[48:49], v[48:49], v[28:29] op_sel_hi:[0,1]
	v_mov_b32_e32 v63, v27
	v_mov_b32_e32 v43, v3
	v_pk_mul_f32 v[52:53], v[52:53], v[30:31] op_sel_hi:[0,1]
	v_pk_mul_f32 v[54:55], v[54:55], v[38:39] op_sel_hi:[0,1]
	v_pk_fma_f32 v[36:37], v[6:7], v[28:29], v[48:49] op_sel:[0,0,1] op_sel_hi:[1,1,0]
	v_pk_fma_f32 v[6:7], v[6:7], v[28:29], v[48:49] op_sel:[0,0,1] op_sel_hi:[0,1,0] neg_lo:[1,0,0] neg_hi:[1,0,0]
	v_mov_b32_e32 v61, v19
	v_mov_b32_e32 v25, v5
	v_pk_add_f32 v[2:3], v[42:43], v[62:63] neg_lo:[0,1] neg_hi:[0,1]
	v_pk_mul_f32 v[58:59], v[58:59], v[44:45] op_sel_hi:[0,1]
	v_pk_fma_f32 v[28:29], v[14:15], v[38:39], v[54:55] op_sel:[0,0,1] op_sel_hi:[1,1,0]
	v_pk_fma_f32 v[14:15], v[14:15], v[38:39], v[54:55] op_sel:[0,0,1] op_sel_hi:[0,1,0] neg_lo:[1,0,0] neg_hi:[1,0,0]
	v_pk_fma_f32 v[38:39], v[8:9], v[30:31], v[52:53] op_sel:[0,0,1] op_sel_hi:[1,1,0]
	v_pk_fma_f32 v[8:9], v[8:9], v[30:31], v[52:53] op_sel:[0,0,1] op_sel_hi:[0,1,0] neg_lo:[1,0,0] neg_hi:[1,0,0]
	v_mov_b32_e32 v23, v17
	v_mov_b32_e32 v37, v7
	v_pk_add_f32 v[4:5], v[42:43], v[62:63]
	v_pk_add_f32 v[6:7], v[24:25], v[60:61] neg_lo:[0,1] neg_hi:[0,1]
	v_pk_mul_f32 v[26:27], v[2:3], s[16:17] op_sel_hi:[1,0]
	v_pk_fma_f32 v[30:31], v[12:13], v[44:45], v[58:59] op_sel:[0,0,1] op_sel_hi:[1,1,0]
	v_pk_fma_f32 v[12:13], v[12:13], v[44:45], v[58:59] op_sel:[0,0,1] op_sel_hi:[0,1,0] neg_lo:[1,0,0] neg_hi:[1,0,0]
	v_mov_b32_e32 v39, v9
	v_mov_b32_e32 v41, v11
	v_pk_add_f32 v[8:9], v[24:25], v[60:61]
	v_pk_add_f32 v[10:11], v[36:37], v[22:23] neg_lo:[0,1] neg_hi:[0,1]
	v_pk_mul_f32 v[32:33], v[6:7], s[24:25] op_sel_hi:[1,0]
	v_pk_fma_f32 v[46:47], v[4:5], s[6:7], v[26:27] op_sel:[0,0,1] op_sel_hi:[1,0,0]
	v_pk_fma_f32 v[26:27], v[4:5], s[6:7], v[26:27] op_sel:[0,0,1] op_sel_hi:[1,0,0] neg_lo:[0,0,1] neg_hi:[0,0,1]
	v_pk_add_f32 v[42:43], v[0:1], v[42:43]
	v_mov_b32_e32 v29, v15
	v_mov_b32_e32 v31, v13
	v_pk_add_f32 v[12:13], v[36:37], v[22:23]
	v_pk_mul_f32 v[44:45], v[10:11], s[14:15] op_sel_hi:[1,0]
	v_pk_fma_f32 v[48:49], v[8:9], s[8:9], v[32:33] op_sel:[0,0,1] op_sel_hi:[1,0,0]
	v_pk_fma_f32 v[32:33], v[8:9], s[8:9], v[32:33] op_sel:[0,0,1] op_sel_hi:[1,0,0] neg_lo:[0,0,1] neg_hi:[0,0,1]
	v_mov_b32_e32 v52, v46
	v_mov_b32_e32 v53, v27
	v_pk_add_f32 v[24:25], v[42:43], v[24:25]
	v_pk_add_f32 v[14:15], v[38:39], v[28:29] neg_lo:[0,1] neg_hi:[0,1]
	v_pk_fma_f32 v[50:51], v[12:13], s[10:11], v[44:45] op_sel:[0,0,1] op_sel_hi:[1,0,0]
	v_pk_fma_f32 v[44:45], v[12:13], s[10:11], v[44:45] op_sel:[0,0,1] op_sel_hi:[1,0,0] neg_lo:[0,0,1] neg_hi:[0,0,1]
	v_mov_b32_e32 v54, v48
	v_mov_b32_e32 v55, v33
	v_pk_add_f32 v[52:53], v[0:1], v[52:53]
	v_pk_add_f32 v[24:25], v[24:25], v[36:37]
	;; [unrolled: 1-line block ×3, first 2 shown]
	v_mov_b32_e32 v56, v50
	v_mov_b32_e32 v57, v45
	v_pk_add_f32 v[52:53], v[54:55], v[52:53]
	v_pk_mul_f32 v[54:55], v[14:15], s[18:19] op_sel_hi:[1,0]
	v_pk_add_f32 v[24:25], v[24:25], v[38:39]
	v_pk_add_f32 v[52:53], v[56:57], v[52:53]
	v_pk_fma_f32 v[56:57], v[16:17], s[12:13], v[54:55] op_sel:[0,0,1] op_sel_hi:[1,0,0]
	v_pk_fma_f32 v[54:55], v[16:17], s[12:13], v[54:55] op_sel:[0,0,1] op_sel_hi:[1,0,0] neg_lo:[0,0,1] neg_hi:[0,0,1]
	v_pk_add_f32 v[24:25], v[24:25], v[40:41]
	v_pk_add_f32 v[18:19], v[40:41], v[30:31] neg_lo:[0,1] neg_hi:[0,1]
	v_mov_b32_e32 v58, v56
	v_mov_b32_e32 v59, v55
	v_pk_add_f32 v[24:25], v[24:25], v[30:31]
	v_pk_add_f32 v[20:21], v[40:41], v[30:31]
	;; [unrolled: 1-line block ×3, first 2 shown]
	v_pk_mul_f32 v[58:59], v[18:19], s[22:23] op_sel_hi:[1,0]
	v_pk_add_f32 v[24:25], v[24:25], v[28:29]
	v_pk_fma_f32 v[64:65], v[20:21], s[20:21], v[58:59] op_sel:[0,0,1] op_sel_hi:[1,0,0]
	v_pk_fma_f32 v[58:59], v[20:21], s[20:21], v[58:59] op_sel:[0,0,1] op_sel_hi:[1,0,0] neg_lo:[0,0,1] neg_hi:[0,0,1]
	v_pk_add_f32 v[22:23], v[24:25], v[22:23]
	v_mov_b32_e32 v66, v64
	v_mov_b32_e32 v67, v59
	v_pk_add_f32 v[22:23], v[22:23], v[60:61]
	v_pk_add_f32 v[52:53], v[66:67], v[52:53]
	;; [unrolled: 1-line block ×3, first 2 shown]
	ds_write2_b64 v240, v[22:23], v[52:53] offset1:170
	v_pk_mul_f32 v[22:23], v[2:3], s[24:25] op_sel_hi:[1,0]
	v_pk_mul_f32 v[30:31], v[6:7], s[18:19] op_sel_hi:[1,0]
	v_pk_fma_f32 v[24:25], v[4:5], s[8:9], v[22:23] op_sel:[0,0,1] op_sel_hi:[1,0,0]
	v_pk_fma_f32 v[22:23], v[4:5], s[8:9], v[22:23] op_sel:[0,0,1] op_sel_hi:[1,0,0] neg_lo:[0,0,1] neg_hi:[0,0,1]
	v_mov_b32_e32 v28, v24
	v_mov_b32_e32 v29, v23
	v_pk_fma_f32 v[36:37], v[8:9], s[12:13], v[30:31] op_sel:[0,0,1] op_sel_hi:[1,0,0]
	v_pk_fma_f32 v[30:31], v[8:9], s[12:13], v[30:31] op_sel:[0,0,1] op_sel_hi:[1,0,0] neg_lo:[0,0,1] neg_hi:[0,0,1]
	v_pk_add_f32 v[28:29], v[0:1], v[28:29]
	v_mov_b32_e32 v38, v36
	v_mov_b32_e32 v39, v31
	s_mov_b32 s24, 0x3e903f40
	v_pk_add_f32 v[28:29], v[38:39], v[28:29]
	v_pk_mul_f32 v[38:39], v[10:11], s[24:25] op_sel_hi:[1,0]
	v_pk_mul_f32 v[68:69], v[6:7], s[24:25] op_sel_hi:[1,0]
	v_pk_fma_f32 v[40:41], v[12:13], s[20:21], v[38:39] op_sel:[0,0,1] op_sel_hi:[1,0,0]
	v_pk_fma_f32 v[38:39], v[12:13], s[20:21], v[38:39] op_sel:[0,0,1] op_sel_hi:[1,0,0] neg_lo:[0,0,1] neg_hi:[0,0,1]
	v_mov_b32_e32 v42, v40
	v_mov_b32_e32 v43, v39
	v_pk_add_f32 v[28:29], v[42:43], v[28:29]
	v_pk_mul_f32 v[42:43], v[14:15], s[26:27] op_sel_hi:[1,0]
	s_mov_b32 s24, 0x3f68dda4
	v_pk_fma_f32 v[52:53], v[16:17], s[10:11], v[42:43] op_sel:[0,0,1] op_sel_hi:[1,0,0]
	v_pk_fma_f32 v[42:43], v[16:17], s[10:11], v[42:43] op_sel:[0,0,1] op_sel_hi:[1,0,0] neg_lo:[0,0,1] neg_hi:[0,0,1]
	v_mov_b32_e32 v60, v52
	v_mov_b32_e32 v61, v43
	v_pk_add_f32 v[28:29], v[60:61], v[28:29]
	v_pk_mul_f32 v[60:61], v[18:19], s[28:29] op_sel_hi:[1,0]
	v_pk_fma_f32 v[80:81], v[8:9], s[20:21], v[68:69] op_sel:[0,0,1] op_sel_hi:[1,0,0]
	v_pk_fma_f32 v[62:63], v[20:21], s[6:7], v[60:61] op_sel:[0,0,1] op_sel_hi:[1,0,0]
	v_pk_fma_f32 v[60:61], v[20:21], s[6:7], v[60:61] op_sel:[0,0,1] op_sel_hi:[1,0,0] neg_lo:[0,0,1] neg_hi:[0,0,1]
	v_mov_b32_e32 v66, v62
	v_mov_b32_e32 v67, v61
	v_pk_add_f32 v[28:29], v[66:67], v[28:29]
	v_pk_mul_f32 v[66:67], v[2:3], s[14:15] op_sel_hi:[1,0]
	v_pk_fma_f32 v[68:69], v[8:9], s[20:21], v[68:69] op_sel:[0,0,1] op_sel_hi:[1,0,0] neg_lo:[0,0,1] neg_hi:[0,0,1]
	v_pk_fma_f32 v[76:77], v[4:5], s[10:11], v[66:67] op_sel:[0,0,1] op_sel_hi:[1,0,0]
	v_pk_fma_f32 v[66:67], v[4:5], s[10:11], v[66:67] op_sel:[0,0,1] op_sel_hi:[1,0,0] neg_lo:[0,0,1] neg_hi:[0,0,1]
	v_mov_b32_e32 v78, v76
	v_mov_b32_e32 v79, v67
	v_pk_mul_f32 v[70:71], v[10:11], s[24:25] op_sel_hi:[1,0]
	v_pk_add_f32 v[78:79], v[0:1], v[78:79]
	v_mov_b32_e32 v82, v80
	v_mov_b32_e32 v83, v69
	v_pk_add_f32 v[78:79], v[82:83], v[78:79]
	v_pk_fma_f32 v[82:83], v[12:13], s[8:9], v[70:71] op_sel:[0,0,1] op_sel_hi:[1,0,0]
	v_pk_fma_f32 v[70:71], v[12:13], s[8:9], v[70:71] op_sel:[0,0,1] op_sel_hi:[1,0,0] neg_lo:[0,0,1] neg_hi:[0,0,1]
	v_pk_mul_f32 v[72:73], v[14:15], s[16:17] op_sel_hi:[1,0]
	v_mov_b32_e32 v84, v82
	v_mov_b32_e32 v85, v71
	v_pk_add_f32 v[78:79], v[84:85], v[78:79]
	v_pk_fma_f32 v[84:85], v[16:17], s[6:7], v[72:73] op_sel:[0,0,1] op_sel_hi:[1,0,0]
	v_pk_fma_f32 v[72:73], v[16:17], s[6:7], v[72:73] op_sel:[0,0,1] op_sel_hi:[1,0,0] neg_lo:[0,0,1] neg_hi:[0,0,1]
	v_pk_mul_f32 v[74:75], v[18:19], s[18:19] op_sel_hi:[1,0]
	v_mov_b32_e32 v86, v84
	v_mov_b32_e32 v87, v73
	v_pk_add_f32 v[78:79], v[86:87], v[78:79]
	v_pk_fma_f32 v[86:87], v[20:21], s[12:13], v[74:75] op_sel:[0,0,1] op_sel_hi:[1,0,0]
	v_pk_fma_f32 v[74:75], v[20:21], s[12:13], v[74:75] op_sel:[0,0,1] op_sel_hi:[1,0,0] neg_lo:[0,0,1] neg_hi:[0,0,1]
	v_mov_b32_e32 v88, v86
	v_mov_b32_e32 v89, v75
	v_pk_add_f32 v[78:79], v[88:89], v[78:79]
	v_add_u32_e32 v23, 0x800, v240
	ds_write2_b64 v23, v[28:29], v[78:79] offset0:84 offset1:254
	v_pk_mul_f32 v[28:29], v[2:3], s[18:19] op_sel_hi:[1,0]
	v_pk_mul_f32 v[78:79], v[6:7], s[26:27] op_sel_hi:[1,0]
	v_pk_fma_f32 v[94:95], v[4:5], s[12:13], v[28:29] op_sel:[0,0,1] op_sel_hi:[1,0,0]
	v_pk_fma_f32 v[28:29], v[4:5], s[12:13], v[28:29] op_sel:[0,0,1] op_sel_hi:[1,0,0] neg_lo:[0,0,1] neg_hi:[0,0,1]
	v_mov_b32_e32 v96, v94
	v_mov_b32_e32 v97, v29
	v_pk_fma_f32 v[98:99], v[8:9], s[10:11], v[78:79] op_sel:[0,0,1] op_sel_hi:[1,0,0]
	v_pk_fma_f32 v[78:79], v[8:9], s[10:11], v[78:79] op_sel:[0,0,1] op_sel_hi:[1,0,0] neg_lo:[0,0,1] neg_hi:[0,0,1]
	v_pk_mul_f32 v[88:89], v[10:11], s[16:17] op_sel_hi:[1,0]
	v_pk_add_f32 v[96:97], v[0:1], v[96:97]
	v_mov_b32_e32 v100, v98
	v_mov_b32_e32 v101, v79
	v_pk_add_f32 v[96:97], v[100:101], v[96:97]
	v_pk_fma_f32 v[100:101], v[12:13], s[6:7], v[88:89] op_sel:[0,0,1] op_sel_hi:[1,0,0]
	v_pk_fma_f32 v[88:89], v[12:13], s[6:7], v[88:89] op_sel:[0,0,1] op_sel_hi:[1,0,0] neg_lo:[0,0,1] neg_hi:[0,0,1]
	v_pk_mul_f32 v[90:91], v[14:15], s[22:23] op_sel_hi:[1,0]
	v_mov_b32_e32 v102, v100
	v_mov_b32_e32 v103, v89
	v_pk_add_f32 v[96:97], v[102:103], v[96:97]
	v_pk_fma_f32 v[102:103], v[16:17], s[20:21], v[90:91] op_sel:[0,0,1] op_sel_hi:[1,0,0]
	v_pk_fma_f32 v[90:91], v[16:17], s[20:21], v[90:91] op_sel:[0,0,1] op_sel_hi:[1,0,0] neg_lo:[0,0,1] neg_hi:[0,0,1]
	v_pk_mul_f32 v[92:93], v[18:19], s[24:25] op_sel_hi:[1,0]
	v_mov_b32_e32 v104, v102
	v_mov_b32_e32 v105, v91
	v_pk_add_f32 v[96:97], v[104:105], v[96:97]
	v_pk_fma_f32 v[104:105], v[20:21], s[8:9], v[92:93] op_sel:[0,0,1] op_sel_hi:[1,0,0]
	v_pk_fma_f32 v[92:93], v[20:21], s[8:9], v[92:93] op_sel:[0,0,1] op_sel_hi:[1,0,0] neg_lo:[0,0,1] neg_hi:[0,0,1]
	v_mov_b32_e32 v106, v104
	v_mov_b32_e32 v107, v93
	v_pk_mul_f32 v[2:3], v[2:3], s[22:23] op_sel_hi:[1,0]
	v_pk_add_f32 v[96:97], v[106:107], v[96:97]
	v_pk_mul_f32 v[6:7], v[6:7], s[28:29] op_sel_hi:[1,0]
	v_pk_fma_f32 v[106:107], v[4:5], s[20:21], v[2:3] op_sel:[0,0,1] op_sel_hi:[1,0,0]
	v_pk_fma_f32 v[2:3], v[4:5], s[20:21], v[2:3] op_sel:[0,0,1] op_sel_hi:[1,0,0] neg_lo:[0,0,1] neg_hi:[0,0,1]
	v_mov_b32_e32 v4, v106
	v_mov_b32_e32 v5, v3
	v_pk_fma_f32 v[108:109], v[8:9], s[6:7], v[6:7] op_sel:[0,0,1] op_sel_hi:[1,0,0]
	v_pk_fma_f32 v[6:7], v[8:9], s[6:7], v[6:7] op_sel:[0,0,1] op_sel_hi:[1,0,0] neg_lo:[0,0,1] neg_hi:[0,0,1]
	v_pk_mul_f32 v[10:11], v[10:11], s[18:19] op_sel_hi:[1,0]
	v_pk_add_f32 v[4:5], v[0:1], v[4:5]
	v_mov_b32_e32 v8, v108
	v_mov_b32_e32 v9, v7
	v_pk_add_f32 v[4:5], v[8:9], v[4:5]
	v_pk_fma_f32 v[8:9], v[12:13], s[12:13], v[10:11] op_sel:[0,0,1] op_sel_hi:[1,0,0]
	v_pk_fma_f32 v[10:11], v[12:13], s[12:13], v[10:11] op_sel:[0,0,1] op_sel_hi:[1,0,0] neg_lo:[0,0,1] neg_hi:[0,0,1]
	v_pk_mul_f32 v[14:15], v[14:15], s[24:25] op_sel_hi:[1,0]
	v_mov_b32_e32 v12, v8
	v_mov_b32_e32 v13, v11
	v_pk_add_f32 v[4:5], v[12:13], v[4:5]
	v_pk_fma_f32 v[12:13], v[16:17], s[8:9], v[14:15] op_sel:[0,0,1] op_sel_hi:[1,0,0]
	v_pk_fma_f32 v[14:15], v[16:17], s[8:9], v[14:15] op_sel:[0,0,1] op_sel_hi:[1,0,0] neg_lo:[0,0,1] neg_hi:[0,0,1]
	v_pk_mul_f32 v[18:19], v[18:19], s[14:15] op_sel_hi:[1,0]
	v_mov_b32_e32 v16, v12
	v_mov_b32_e32 v17, v15
	v_pk_add_f32 v[4:5], v[16:17], v[4:5]
	v_pk_fma_f32 v[16:17], v[20:21], s[10:11], v[18:19] op_sel:[0,0,1] op_sel_hi:[1,0,0]
	v_pk_fma_f32 v[18:19], v[20:21], s[10:11], v[18:19] op_sel:[0,0,1] op_sel_hi:[1,0,0] neg_lo:[0,0,1] neg_hi:[0,0,1]
	v_mov_b32_e32 v20, v16
	v_mov_b32_e32 v21, v19
	v_pk_add_f32 v[4:5], v[20:21], v[4:5]
	v_add_u32_e32 v3, 0x1400, v240
	ds_write2_b64 v3, v[96:97], v[4:5] offset0:40 offset1:210
	v_mov_b32_e32 v3, v107
	v_mov_b32_e32 v29, v95
	v_pk_add_f32 v[2:3], v[0:1], v[2:3]
	v_mov_b32_e32 v7, v109
	v_pk_add_f32 v[4:5], v[0:1], v[28:29]
	;; [unrolled: 2-line block ×9, first 2 shown]
	v_pk_add_f32 v[4:5], v[92:93], v[4:5]
	v_add_u32_e32 v6, 0x1e00, v240
	v_mov_b32_e32 v67, v77
	v_mov_b32_e32 v23, v25
	;; [unrolled: 1-line block ×3, first 2 shown]
	ds_write2_b64 v6, v[2:3], v[4:5] offset0:60 offset1:230
	v_pk_add_f32 v[2:3], v[0:1], v[66:67]
	v_mov_b32_e32 v69, v81
	v_pk_add_f32 v[4:5], v[0:1], v[22:23]
	v_mov_b32_e32 v31, v37
	;; [unrolled: 2-line block ×12, first 2 shown]
	v_pk_add_f32 v[2:3], v[74:75], v[2:3]
	v_pk_add_f32 v[4:5], v[60:61], v[4:5]
	v_add_u32_e32 v6, 0x2800, v240
	v_pk_add_f32 v[0:1], v[58:59], v[0:1]
	ds_write2_b64 v6, v[2:3], v[4:5] offset0:80 offset1:250
	ds_write_b64 v240, v[0:1] offset:13600
.LBB0_17:
	s_or_b64 exec, exec, s[2:3]
	s_waitcnt lgkmcnt(0)
	s_barrier
	ds_read_b64 v[6:7], v240
	s_add_u32 s2, s4, 0x39e8
	v_lshlrev_b32_e32 v0, 3, v34
	s_addc_u32 s3, s5, 0
	v_sub_u32_e32 v8, 0, v0
	v_cmp_ne_u32_e32 vcc, 0, v34
                                        ; implicit-def: $vgpr5
                                        ; implicit-def: $vgpr2_vgpr3
                                        ; implicit-def: $vgpr0_vgpr1
	s_and_saveexec_b64 s[4:5], vcc
	s_xor_b64 s[4:5], exec, s[4:5]
	s_cbranch_execz .LBB0_19
; %bb.18:
	v_mov_b32_e32 v35, 0
	v_lshl_add_u64 v[0:1], v[34:35], 3, s[2:3]
	global_load_dwordx2 v[0:1], v[0:1], off
	ds_read_b64 v[2:3], v8 offset:14960
	v_mov_b32_e32 v5, 0.5
	v_mov_b32_e32 v10, v5
	s_waitcnt lgkmcnt(0)
	v_pk_add_f32 v[12:13], v[2:3], v[6:7]
	v_pk_add_f32 v[2:3], v[6:7], v[2:3] neg_lo:[0,1] neg_hi:[0,1]
	v_mov_b32_e32 v6, v13
	v_mov_b32_e32 v7, v2
	v_pk_mul_f32 v[6:7], v[6:7], 0.5 op_sel_hi:[1,0]
	s_waitcnt vmcnt(0)
	v_mov_b32_e32 v4, v1
	v_mov_b32_e32 v2, v7
	;; [unrolled: 1-line block ×4, first 2 shown]
	v_pk_mul_f32 v[2:3], v[4:5], v[2:3]
	v_pk_mul_f32 v[14:15], v[0:1], v[6:7] op_sel_hi:[0,1]
	v_pk_fma_f32 v[16:17], v[12:13], v[10:11], v[2:3]
	v_pk_fma_f32 v[2:3], v[12:13], v[10:11], v[2:3] neg_lo:[0,0,1] neg_hi:[0,0,1]
	v_pk_fma_f32 v[4:5], v[0:1], v[6:7], v[16:17] op_sel_hi:[0,1,1] neg_lo:[1,0,0] neg_hi:[1,0,0]
	v_pk_fma_f32 v[2:3], v[0:1], v[6:7], v[2:3] op_sel_hi:[0,1,1] neg_lo:[1,0,0] neg_hi:[1,0,0]
	v_add_f32_e32 v4, v16, v14
	v_mov_b64_e32 v[0:1], v[34:35]
                                        ; implicit-def: $vgpr6_vgpr7
.LBB0_19:
	s_andn2_saveexec_b64 s[4:5], s[4:5]
	s_cbranch_execz .LBB0_21
; %bb.20:
	s_waitcnt lgkmcnt(0)
	v_mov_b32_e32 v0, v7
	v_pk_add_f32 v[2:3], v[6:7], v[0:1] neg_lo:[0,1] neg_hi:[0,1]
	v_add_f32_e32 v4, v7, v6
	v_mov_b32_e32 v3, 0
	ds_read_b32 v5, v3 offset:7484
	v_mov_b64_e32 v[0:1], 0
	s_waitcnt lgkmcnt(0)
	v_xor_b32_e32 v5, 0x80000000, v5
	ds_write_b32 v3, v5 offset:7484
	v_mov_b32_e32 v5, v3
.LBB0_21:
	s_or_b64 exec, exec, s[4:5]
	s_waitcnt lgkmcnt(0)
	v_lshl_add_u64 v[6:7], v[0:1], 3, s[2:3]
	global_load_dwordx2 v[10:11], v[6:7], off offset:1496
	global_load_dwordx2 v[12:13], v[6:7], off offset:2992
	s_movk_i32 s2, 0x1000
	v_add_co_u32_e32 v6, vcc, s2, v6
	s_waitcnt vmcnt(1)
	v_mov_b32_e32 v19, v11
	v_addc_co_u32_e32 v7, vcc, 0, v7, vcc
	global_load_dwordx2 v[14:15], v[6:7], off offset:392
	global_load_dwordx2 v[16:17], v[6:7], off offset:1888
	ds_write_b64 v240, v[4:5]
	ds_write_b64 v8, v[2:3] offset:14960
	ds_read_b64 v[2:3], v240 offset:1496
	ds_read_b64 v[4:5], v8 offset:13464
	v_mov_b32_e32 v7, 0.5
	v_mov_b32_e32 v18, v7
	v_mov_b32_e32 v6, v11
	s_waitcnt lgkmcnt(0)
	v_pk_add_f32 v[20:21], v[2:3], v[4:5]
	v_pk_add_f32 v[2:3], v[2:3], v[4:5] neg_lo:[0,1] neg_hi:[0,1]
	v_mov_b32_e32 v4, v21
	v_mov_b32_e32 v5, v2
	v_pk_mul_f32 v[4:5], v[4:5], 0.5 op_sel_hi:[1,0]
	s_nop 0
	v_mov_b32_e32 v21, v4
	v_mov_b32_e32 v2, v5
	v_pk_mul_f32 v[18:19], v[20:21], v[18:19]
	s_nop 0
	v_pk_fma_f32 v[20:21], v[6:7], v[2:3], v[18:19] neg_lo:[1,0,0] neg_hi:[1,0,0]
	v_pk_fma_f32 v[2:3], v[6:7], v[2:3], v[18:19]
	v_pk_fma_f32 v[18:19], v[10:11], v[4:5], v[20:21] op_sel_hi:[0,1,1] neg_lo:[1,0,0] neg_hi:[1,0,0]
	v_pk_fma_f32 v[20:21], v[10:11], v[4:5], v[2:3] op_sel_hi:[0,1,1]
	v_pk_fma_f32 v[2:3], v[10:11], v[4:5], v[2:3] op_sel_hi:[0,1,1] neg_lo:[1,0,0] neg_hi:[1,0,0]
	v_mov_b32_e32 v21, v3
	ds_write_b64 v240, v[20:21] offset:1496
	ds_write_b64 v8, v[18:19] offset:13464
	ds_read_b64 v[2:3], v240 offset:2992
	ds_read_b64 v[4:5], v8 offset:11968
	v_mov_b32_e32 v10, v7
	s_waitcnt vmcnt(2)
	v_mov_b32_e32 v11, v13
	v_mov_b32_e32 v6, v13
	s_waitcnt lgkmcnt(0)
	v_pk_add_f32 v[18:19], v[2:3], v[4:5]
	v_pk_add_f32 v[2:3], v[2:3], v[4:5] neg_lo:[0,1] neg_hi:[0,1]
	v_mov_b32_e32 v4, v19
	v_mov_b32_e32 v5, v2
	v_pk_mul_f32 v[4:5], v[4:5], 0.5 op_sel_hi:[1,0]
	s_nop 0
	v_mov_b32_e32 v19, v4
	v_mov_b32_e32 v2, v5
	v_pk_mul_f32 v[10:11], v[18:19], v[10:11]
	s_nop 0
	v_pk_fma_f32 v[18:19], v[6:7], v[2:3], v[10:11] neg_lo:[1,0,0] neg_hi:[1,0,0]
	v_pk_fma_f32 v[2:3], v[6:7], v[2:3], v[10:11]
	v_pk_fma_f32 v[10:11], v[12:13], v[4:5], v[18:19] op_sel_hi:[0,1,1] neg_lo:[1,0,0] neg_hi:[1,0,0]
	v_pk_fma_f32 v[18:19], v[12:13], v[4:5], v[2:3] op_sel_hi:[0,1,1]
	v_pk_fma_f32 v[2:3], v[12:13], v[4:5], v[2:3] op_sel_hi:[0,1,1] neg_lo:[1,0,0] neg_hi:[1,0,0]
	v_mov_b32_e32 v19, v3
	ds_write_b64 v240, v[18:19] offset:2992
	ds_write_b64 v8, v[10:11] offset:11968
	ds_read_b64 v[2:3], v240 offset:4488
	ds_read_b64 v[4:5], v8 offset:10472
	v_mov_b32_e32 v10, v7
	s_waitcnt lgkmcnt(0)
	v_pk_add_f32 v[12:13], v[2:3], v[4:5]
	v_pk_add_f32 v[2:3], v[2:3], v[4:5] neg_lo:[0,1] neg_hi:[0,1]
	v_mov_b32_e32 v4, v13
	v_mov_b32_e32 v5, v2
	v_pk_mul_f32 v[4:5], v[4:5], 0.5 op_sel_hi:[1,0]
	s_waitcnt vmcnt(1)
	v_mov_b32_e32 v11, v15
	v_mov_b32_e32 v13, v4
	;; [unrolled: 1-line block ×4, first 2 shown]
	v_pk_mul_f32 v[10:11], v[12:13], v[10:11]
	s_nop 0
	v_pk_fma_f32 v[12:13], v[6:7], v[2:3], v[10:11] neg_lo:[1,0,0] neg_hi:[1,0,0]
	v_pk_fma_f32 v[2:3], v[6:7], v[2:3], v[10:11]
	v_pk_fma_f32 v[10:11], v[14:15], v[4:5], v[12:13] op_sel_hi:[0,1,1] neg_lo:[1,0,0] neg_hi:[1,0,0]
	v_pk_fma_f32 v[12:13], v[14:15], v[4:5], v[2:3] op_sel_hi:[0,1,1]
	v_pk_fma_f32 v[2:3], v[14:15], v[4:5], v[2:3] op_sel_hi:[0,1,1] neg_lo:[1,0,0] neg_hi:[1,0,0]
	v_mov_b32_e32 v13, v3
	ds_write_b64 v240, v[12:13] offset:4488
	ds_write_b64 v8, v[10:11] offset:10472
	ds_read_b64 v[2:3], v240 offset:5984
	ds_read_b64 v[4:5], v8 offset:8976
	v_mov_b32_e32 v10, v7
	s_waitcnt vmcnt(0)
	v_mov_b32_e32 v11, v17
	v_mov_b32_e32 v6, v17
	s_waitcnt lgkmcnt(0)
	v_pk_add_f32 v[12:13], v[2:3], v[4:5]
	v_pk_add_f32 v[2:3], v[2:3], v[4:5] neg_lo:[0,1] neg_hi:[0,1]
	v_mov_b32_e32 v4, v13
	v_mov_b32_e32 v5, v2
	v_pk_mul_f32 v[4:5], v[4:5], 0.5 op_sel_hi:[1,0]
	s_nop 0
	v_mov_b32_e32 v13, v4
	v_mov_b32_e32 v2, v5
	v_pk_mul_f32 v[10:11], v[12:13], v[10:11]
	s_nop 0
	v_pk_fma_f32 v[12:13], v[6:7], v[2:3], v[10:11] neg_lo:[1,0,0] neg_hi:[1,0,0]
	v_pk_fma_f32 v[2:3], v[6:7], v[2:3], v[10:11]
	v_pk_fma_f32 v[6:7], v[16:17], v[4:5], v[12:13] op_sel_hi:[0,1,1] neg_lo:[1,0,0] neg_hi:[1,0,0]
	v_pk_fma_f32 v[10:11], v[16:17], v[4:5], v[2:3] op_sel_hi:[0,1,1]
	v_pk_fma_f32 v[2:3], v[16:17], v[4:5], v[2:3] op_sel_hi:[0,1,1] neg_lo:[1,0,0] neg_hi:[1,0,0]
	v_mov_b32_e32 v11, v3
	ds_write_b64 v240, v[10:11] offset:5984
	ds_write_b64 v8, v[6:7] offset:8976
	s_waitcnt lgkmcnt(0)
	s_barrier
	s_and_saveexec_b64 s[2:3], s[0:1]
	s_cbranch_execz .LBB0_24
; %bb.22:
	ds_read2_b64 v[2:5], v240 offset1:187
	v_add_u32_e32 v6, 0xa00, v240
	ds_read2_b64 v[6:9], v6 offset0:54 offset1:241
	v_lshl_add_u64 v[10:11], v[0:1], 3, v[110:111]
	v_add_u32_e32 v0, 0x1600, v240
	s_waitcnt lgkmcnt(1)
	global_store_dwordx2 v[10:11], v[2:3], off
	global_store_dwordx2 v[10:11], v[4:5], off offset:1496
	s_waitcnt lgkmcnt(0)
	global_store_dwordx2 v[10:11], v[6:7], off offset:2992
	ds_read2_b64 v[0:3], v0 offset0:44 offset1:231
	v_add_co_u32_e32 v4, vcc, 0x1000, v10
	s_movk_i32 s0, 0xba
	s_nop 0
	v_addc_co_u32_e32 v5, vcc, 0, v11, vcc
	global_store_dwordx2 v[4:5], v[8:9], off offset:392
	s_waitcnt lgkmcnt(0)
	global_store_dwordx2 v[4:5], v[0:1], off offset:1888
	global_store_dwordx2 v[4:5], v[2:3], off offset:3384
	v_add_u32_e32 v0, 0x2200, v240
	ds_read2_b64 v[0:3], v0 offset0:34 offset1:221
	v_add_u32_e32 v4, 0x2e00, v240
	ds_read2_b64 v[4:7], v4 offset0:24 offset1:211
	v_add_co_u32_e32 v8, vcc, 0x2000, v10
	s_nop 1
	v_addc_co_u32_e32 v9, vcc, 0, v11, vcc
	s_waitcnt lgkmcnt(1)
	global_store_dwordx2 v[8:9], v[0:1], off offset:784
	global_store_dwordx2 v[8:9], v[2:3], off offset:2280
	s_waitcnt lgkmcnt(0)
	global_store_dwordx2 v[8:9], v[4:5], off offset:3776
	v_add_co_u32_e32 v0, vcc, 0x3000, v10
	s_nop 1
	v_addc_co_u32_e32 v1, vcc, 0, v11, vcc
	v_cmp_eq_u32_e32 vcc, s0, v34
	global_store_dwordx2 v[0:1], v[6:7], off offset:1176
	s_and_b64 exec, exec, vcc
	s_cbranch_execz .LBB0_24
; %bb.23:
	v_mov_b32_e32 v0, 0
	ds_read_b64 v[0:1], v0 offset:14960
	v_add_co_u32_e32 v2, vcc, 0x3000, v110
	s_nop 1
	v_addc_co_u32_e32 v3, vcc, 0, v111, vcc
	s_waitcnt lgkmcnt(0)
	global_store_dwordx2 v[2:3], v[0:1], off offset:2672
.LBB0_24:
	s_endpgm
	.section	.rodata,"a",@progbits
	.p2align	6, 0x0
	.amdhsa_kernel fft_rtc_back_len1870_factors_17_10_11_wgs_187_tpt_187_halfLds_sp_ip_CI_unitstride_sbrr_R2C_dirReg
		.amdhsa_group_segment_fixed_size 0
		.amdhsa_private_segment_fixed_size 0
		.amdhsa_kernarg_size 88
		.amdhsa_user_sgpr_count 2
		.amdhsa_user_sgpr_dispatch_ptr 0
		.amdhsa_user_sgpr_queue_ptr 0
		.amdhsa_user_sgpr_kernarg_segment_ptr 1
		.amdhsa_user_sgpr_dispatch_id 0
		.amdhsa_user_sgpr_kernarg_preload_length 0
		.amdhsa_user_sgpr_kernarg_preload_offset 0
		.amdhsa_user_sgpr_private_segment_size 0
		.amdhsa_uses_dynamic_stack 0
		.amdhsa_enable_private_segment 0
		.amdhsa_system_sgpr_workgroup_id_x 1
		.amdhsa_system_sgpr_workgroup_id_y 0
		.amdhsa_system_sgpr_workgroup_id_z 0
		.amdhsa_system_sgpr_workgroup_info 0
		.amdhsa_system_vgpr_workitem_id 0
		.amdhsa_next_free_vgpr 278
		.amdhsa_next_free_sgpr 50
		.amdhsa_accum_offset 256
		.amdhsa_reserve_vcc 1
		.amdhsa_float_round_mode_32 0
		.amdhsa_float_round_mode_16_64 0
		.amdhsa_float_denorm_mode_32 3
		.amdhsa_float_denorm_mode_16_64 3
		.amdhsa_dx10_clamp 1
		.amdhsa_ieee_mode 1
		.amdhsa_fp16_overflow 0
		.amdhsa_tg_split 0
		.amdhsa_exception_fp_ieee_invalid_op 0
		.amdhsa_exception_fp_denorm_src 0
		.amdhsa_exception_fp_ieee_div_zero 0
		.amdhsa_exception_fp_ieee_overflow 0
		.amdhsa_exception_fp_ieee_underflow 0
		.amdhsa_exception_fp_ieee_inexact 0
		.amdhsa_exception_int_div_zero 0
	.end_amdhsa_kernel
	.text
.Lfunc_end0:
	.size	fft_rtc_back_len1870_factors_17_10_11_wgs_187_tpt_187_halfLds_sp_ip_CI_unitstride_sbrr_R2C_dirReg, .Lfunc_end0-fft_rtc_back_len1870_factors_17_10_11_wgs_187_tpt_187_halfLds_sp_ip_CI_unitstride_sbrr_R2C_dirReg
                                        ; -- End function
	.section	.AMDGPU.csdata,"",@progbits
; Kernel info:
; codeLenInByte = 11012
; NumSgprs: 56
; NumVgprs: 256
; NumAgprs: 22
; TotalNumVgprs: 278
; ScratchSize: 0
; MemoryBound: 0
; FloatMode: 240
; IeeeMode: 1
; LDSByteSize: 0 bytes/workgroup (compile time only)
; SGPRBlocks: 6
; VGPRBlocks: 34
; NumSGPRsForWavesPerEU: 56
; NumVGPRsForWavesPerEU: 278
; AccumOffset: 256
; Occupancy: 1
; WaveLimiterHint : 1
; COMPUTE_PGM_RSRC2:SCRATCH_EN: 0
; COMPUTE_PGM_RSRC2:USER_SGPR: 2
; COMPUTE_PGM_RSRC2:TRAP_HANDLER: 0
; COMPUTE_PGM_RSRC2:TGID_X_EN: 1
; COMPUTE_PGM_RSRC2:TGID_Y_EN: 0
; COMPUTE_PGM_RSRC2:TGID_Z_EN: 0
; COMPUTE_PGM_RSRC2:TIDIG_COMP_CNT: 0
; COMPUTE_PGM_RSRC3_GFX90A:ACCUM_OFFSET: 63
; COMPUTE_PGM_RSRC3_GFX90A:TG_SPLIT: 0
	.text
	.p2alignl 6, 3212836864
	.fill 256, 4, 3212836864
	.type	__hip_cuid_e7d3ba2fefc2098,@object ; @__hip_cuid_e7d3ba2fefc2098
	.section	.bss,"aw",@nobits
	.globl	__hip_cuid_e7d3ba2fefc2098
__hip_cuid_e7d3ba2fefc2098:
	.byte	0                               ; 0x0
	.size	__hip_cuid_e7d3ba2fefc2098, 1

	.ident	"AMD clang version 19.0.0git (https://github.com/RadeonOpenCompute/llvm-project roc-6.4.0 25133 c7fe45cf4b819c5991fe208aaa96edf142730f1d)"
	.section	".note.GNU-stack","",@progbits
	.addrsig
	.addrsig_sym __hip_cuid_e7d3ba2fefc2098
	.amdgpu_metadata
---
amdhsa.kernels:
  - .agpr_count:     22
    .args:
      - .actual_access:  read_only
        .address_space:  global
        .offset:         0
        .size:           8
        .value_kind:     global_buffer
      - .offset:         8
        .size:           8
        .value_kind:     by_value
      - .actual_access:  read_only
        .address_space:  global
        .offset:         16
        .size:           8
        .value_kind:     global_buffer
      - .actual_access:  read_only
        .address_space:  global
        .offset:         24
        .size:           8
        .value_kind:     global_buffer
      - .offset:         32
        .size:           8
        .value_kind:     by_value
      - .actual_access:  read_only
        .address_space:  global
        .offset:         40
        .size:           8
        .value_kind:     global_buffer
      - .actual_access:  read_only
        .address_space:  global
        .offset:         48
        .size:           8
        .value_kind:     global_buffer
      - .offset:         56
        .size:           4
        .value_kind:     by_value
      - .actual_access:  read_only
        .address_space:  global
        .offset:         64
        .size:           8
        .value_kind:     global_buffer
      - .actual_access:  read_only
        .address_space:  global
        .offset:         72
        .size:           8
        .value_kind:     global_buffer
      - .address_space:  global
        .offset:         80
        .size:           8
        .value_kind:     global_buffer
    .group_segment_fixed_size: 0
    .kernarg_segment_align: 8
    .kernarg_segment_size: 88
    .language:       OpenCL C
    .language_version:
      - 2
      - 0
    .max_flat_workgroup_size: 187
    .name:           fft_rtc_back_len1870_factors_17_10_11_wgs_187_tpt_187_halfLds_sp_ip_CI_unitstride_sbrr_R2C_dirReg
    .private_segment_fixed_size: 0
    .sgpr_count:     56
    .sgpr_spill_count: 0
    .symbol:         fft_rtc_back_len1870_factors_17_10_11_wgs_187_tpt_187_halfLds_sp_ip_CI_unitstride_sbrr_R2C_dirReg.kd
    .uniform_work_group_size: 1
    .uses_dynamic_stack: false
    .vgpr_count:     278
    .vgpr_spill_count: 0
    .wavefront_size: 64
amdhsa.target:   amdgcn-amd-amdhsa--gfx950
amdhsa.version:
  - 1
  - 2
...

	.end_amdgpu_metadata
